;; amdgpu-corpus repo=ROCm/rocFFT kind=compiled arch=gfx950 opt=O3
	.text
	.amdgcn_target "amdgcn-amd-amdhsa--gfx950"
	.amdhsa_code_object_version 6
	.protected	fft_rtc_back_len1716_factors_13_2_6_11_wgs_156_tpt_156_sp_op_CI_CI_unitstride_sbrr_R2C_dirReg ; -- Begin function fft_rtc_back_len1716_factors_13_2_6_11_wgs_156_tpt_156_sp_op_CI_CI_unitstride_sbrr_R2C_dirReg
	.globl	fft_rtc_back_len1716_factors_13_2_6_11_wgs_156_tpt_156_sp_op_CI_CI_unitstride_sbrr_R2C_dirReg
	.p2align	8
	.type	fft_rtc_back_len1716_factors_13_2_6_11_wgs_156_tpt_156_sp_op_CI_CI_unitstride_sbrr_R2C_dirReg,@function
fft_rtc_back_len1716_factors_13_2_6_11_wgs_156_tpt_156_sp_op_CI_CI_unitstride_sbrr_R2C_dirReg: ; @fft_rtc_back_len1716_factors_13_2_6_11_wgs_156_tpt_156_sp_op_CI_CI_unitstride_sbrr_R2C_dirReg
; %bb.0:
	s_load_dwordx4 s[4:7], s[0:1], 0x58
	s_load_dwordx4 s[8:11], s[0:1], 0x0
	;; [unrolled: 1-line block ×3, first 2 shown]
	v_mul_u32_u24_e32 v1, 0x1a5, v0
	v_add_u32_sdwa v6, s2, v1 dst_sel:DWORD dst_unused:UNUSED_PAD src0_sel:DWORD src1_sel:WORD_1
	v_mov_b32_e32 v4, 0
	s_waitcnt lgkmcnt(0)
	v_cmp_lt_u64_e64 s[2:3], s[10:11], 2
	v_mov_b32_e32 v7, v4
	s_and_b64 vcc, exec, s[2:3]
	v_mov_b64_e32 v[2:3], 0
	s_cbranch_vccnz .LBB0_8
; %bb.1:
	s_load_dwordx2 s[2:3], s[0:1], 0x10
	s_add_u32 s16, s14, 8
	s_addc_u32 s17, s15, 0
	s_add_u32 s18, s12, 8
	s_addc_u32 s19, s13, 0
	s_waitcnt lgkmcnt(0)
	s_add_u32 s20, s2, 8
	v_mov_b64_e32 v[2:3], 0
	s_addc_u32 s21, s3, 0
	s_mov_b64 s[22:23], 1
	v_mov_b64_e32 v[24:25], v[2:3]
.LBB0_2:                                ; =>This Inner Loop Header: Depth=1
	s_load_dwordx2 s[24:25], s[20:21], 0x0
                                        ; implicit-def: $vgpr26_vgpr27
	s_waitcnt lgkmcnt(0)
	v_or_b32_e32 v5, s25, v7
	v_cmp_ne_u64_e32 vcc, 0, v[4:5]
	s_and_saveexec_b64 s[2:3], vcc
	s_xor_b64 s[26:27], exec, s[2:3]
	s_cbranch_execz .LBB0_4
; %bb.3:                                ;   in Loop: Header=BB0_2 Depth=1
	v_cvt_f32_u32_e32 v1, s24
	v_cvt_f32_u32_e32 v5, s25
	s_sub_u32 s2, 0, s24
	s_subb_u32 s3, 0, s25
	v_fmac_f32_e32 v1, 0x4f800000, v5
	v_rcp_f32_e32 v1, v1
	s_nop 0
	v_mul_f32_e32 v1, 0x5f7ffffc, v1
	v_mul_f32_e32 v5, 0x2f800000, v1
	v_trunc_f32_e32 v5, v5
	v_fmac_f32_e32 v1, 0xcf800000, v5
	v_cvt_u32_f32_e32 v5, v5
	v_cvt_u32_f32_e32 v1, v1
	v_mul_lo_u32 v8, s2, v5
	v_mul_hi_u32 v10, s2, v1
	v_mul_lo_u32 v9, s3, v1
	v_add_u32_e32 v10, v10, v8
	v_mul_lo_u32 v12, s2, v1
	v_add_u32_e32 v13, v10, v9
	v_mul_hi_u32 v8, v1, v12
	v_mul_hi_u32 v11, v1, v13
	v_mul_lo_u32 v10, v1, v13
	v_mov_b32_e32 v9, v4
	v_lshl_add_u64 v[8:9], v[8:9], 0, v[10:11]
	v_mul_hi_u32 v11, v5, v12
	v_mul_lo_u32 v12, v5, v12
	v_add_co_u32_e32 v8, vcc, v8, v12
	v_mul_hi_u32 v10, v5, v13
	s_nop 0
	v_addc_co_u32_e32 v8, vcc, v9, v11, vcc
	v_mov_b32_e32 v9, v4
	s_nop 0
	v_addc_co_u32_e32 v11, vcc, 0, v10, vcc
	v_mul_lo_u32 v10, v5, v13
	v_lshl_add_u64 v[8:9], v[8:9], 0, v[10:11]
	v_add_co_u32_e32 v1, vcc, v1, v8
	v_mul_lo_u32 v10, s2, v1
	s_nop 0
	v_addc_co_u32_e32 v5, vcc, v5, v9, vcc
	v_mul_lo_u32 v8, s2, v5
	v_mul_hi_u32 v9, s2, v1
	v_add_u32_e32 v8, v9, v8
	v_mul_lo_u32 v9, s3, v1
	v_add_u32_e32 v12, v8, v9
	v_mul_hi_u32 v14, v5, v10
	v_mul_lo_u32 v15, v5, v10
	v_mul_hi_u32 v9, v1, v12
	v_mul_lo_u32 v8, v1, v12
	v_mul_hi_u32 v10, v1, v10
	v_mov_b32_e32 v11, v4
	v_lshl_add_u64 v[8:9], v[10:11], 0, v[8:9]
	v_add_co_u32_e32 v8, vcc, v8, v15
	v_mul_hi_u32 v13, v5, v12
	s_nop 0
	v_addc_co_u32_e32 v8, vcc, v9, v14, vcc
	v_mul_lo_u32 v10, v5, v12
	s_nop 0
	v_addc_co_u32_e32 v11, vcc, 0, v13, vcc
	v_mov_b32_e32 v9, v4
	v_lshl_add_u64 v[8:9], v[8:9], 0, v[10:11]
	v_add_co_u32_e32 v1, vcc, v1, v8
	v_mul_hi_u32 v10, v6, v1
	s_nop 0
	v_addc_co_u32_e32 v5, vcc, v5, v9, vcc
	v_mad_u64_u32 v[8:9], s[2:3], v6, v5, 0
	v_mov_b32_e32 v11, v4
	v_lshl_add_u64 v[8:9], v[10:11], 0, v[8:9]
	v_mad_u64_u32 v[12:13], s[2:3], v7, v1, 0
	v_add_co_u32_e32 v1, vcc, v8, v12
	v_mad_u64_u32 v[10:11], s[2:3], v7, v5, 0
	s_nop 0
	v_addc_co_u32_e32 v8, vcc, v9, v13, vcc
	v_mov_b32_e32 v9, v4
	s_nop 0
	v_addc_co_u32_e32 v11, vcc, 0, v11, vcc
	v_lshl_add_u64 v[8:9], v[8:9], 0, v[10:11]
	v_mul_lo_u32 v1, s25, v8
	v_mul_lo_u32 v5, s24, v9
	v_mad_u64_u32 v[10:11], s[2:3], s24, v8, 0
	v_add3_u32 v1, v11, v5, v1
	v_sub_u32_e32 v5, v7, v1
	v_mov_b32_e32 v11, s25
	v_sub_co_u32_e32 v14, vcc, v6, v10
	v_lshl_add_u64 v[12:13], v[8:9], 0, 1
	s_nop 0
	v_subb_co_u32_e64 v5, s[2:3], v5, v11, vcc
	v_subrev_co_u32_e64 v10, s[2:3], s24, v14
	v_subb_co_u32_e32 v1, vcc, v7, v1, vcc
	s_nop 0
	v_subbrev_co_u32_e64 v5, s[2:3], 0, v5, s[2:3]
	v_cmp_le_u32_e64 s[2:3], s25, v5
	v_cmp_le_u32_e32 vcc, s25, v1
	s_nop 0
	v_cndmask_b32_e64 v11, 0, -1, s[2:3]
	v_cmp_le_u32_e64 s[2:3], s24, v10
	s_nop 1
	v_cndmask_b32_e64 v10, 0, -1, s[2:3]
	v_cmp_eq_u32_e64 s[2:3], s25, v5
	s_nop 1
	v_cndmask_b32_e64 v5, v11, v10, s[2:3]
	v_lshl_add_u64 v[10:11], v[8:9], 0, 2
	v_cmp_ne_u32_e64 s[2:3], 0, v5
	s_nop 1
	v_cndmask_b32_e64 v5, v13, v11, s[2:3]
	v_cndmask_b32_e64 v11, 0, -1, vcc
	v_cmp_le_u32_e32 vcc, s24, v14
	s_nop 1
	v_cndmask_b32_e64 v13, 0, -1, vcc
	v_cmp_eq_u32_e32 vcc, s25, v1
	s_nop 1
	v_cndmask_b32_e32 v1, v11, v13, vcc
	v_cmp_ne_u32_e32 vcc, 0, v1
	v_cndmask_b32_e64 v1, v12, v10, s[2:3]
	s_nop 0
	v_cndmask_b32_e32 v27, v9, v5, vcc
	v_cndmask_b32_e32 v26, v8, v1, vcc
.LBB0_4:                                ;   in Loop: Header=BB0_2 Depth=1
	s_andn2_saveexec_b64 s[2:3], s[26:27]
	s_cbranch_execz .LBB0_6
; %bb.5:                                ;   in Loop: Header=BB0_2 Depth=1
	v_cvt_f32_u32_e32 v1, s24
	s_sub_i32 s26, 0, s24
	v_mov_b32_e32 v27, v4
	v_rcp_iflag_f32_e32 v1, v1
	s_nop 0
	v_mul_f32_e32 v1, 0x4f7ffffe, v1
	v_cvt_u32_f32_e32 v1, v1
	v_mul_lo_u32 v5, s26, v1
	v_mul_hi_u32 v5, v1, v5
	v_add_u32_e32 v1, v1, v5
	v_mul_hi_u32 v1, v6, v1
	v_mul_lo_u32 v5, v1, s24
	v_sub_u32_e32 v5, v6, v5
	v_add_u32_e32 v8, 1, v1
	v_subrev_u32_e32 v9, s24, v5
	v_cmp_le_u32_e32 vcc, s24, v5
	s_nop 1
	v_cndmask_b32_e32 v5, v5, v9, vcc
	v_cndmask_b32_e32 v1, v1, v8, vcc
	v_add_u32_e32 v8, 1, v1
	v_cmp_le_u32_e32 vcc, s24, v5
	s_nop 1
	v_cndmask_b32_e32 v26, v1, v8, vcc
.LBB0_6:                                ;   in Loop: Header=BB0_2 Depth=1
	s_or_b64 exec, exec, s[2:3]
	v_mad_u64_u32 v[8:9], s[2:3], v26, s24, 0
	s_load_dwordx2 s[2:3], s[18:19], 0x0
	v_mul_lo_u32 v1, v27, s24
	v_mul_lo_u32 v5, v26, s25
	s_load_dwordx2 s[24:25], s[16:17], 0x0
	s_add_u32 s22, s22, 1
	v_add3_u32 v1, v9, v5, v1
	v_sub_co_u32_e32 v5, vcc, v6, v8
	s_addc_u32 s23, s23, 0
	s_nop 0
	v_subb_co_u32_e32 v1, vcc, v7, v1, vcc
	s_add_u32 s16, s16, 8
	s_waitcnt lgkmcnt(0)
	v_mul_lo_u32 v6, s2, v1
	v_mul_lo_u32 v7, s3, v5
	v_mad_u64_u32 v[2:3], s[2:3], s2, v5, v[2:3]
	s_addc_u32 s17, s17, 0
	v_add3_u32 v3, v7, v3, v6
	v_mul_lo_u32 v1, s24, v1
	v_mul_lo_u32 v6, s25, v5
	v_mad_u64_u32 v[24:25], s[2:3], s24, v5, v[24:25]
	s_add_u32 s18, s18, 8
	v_add3_u32 v25, v6, v25, v1
	s_addc_u32 s19, s19, 0
	v_mov_b64_e32 v[6:7], s[10:11]
	s_add_u32 s20, s20, 8
	v_cmp_ge_u64_e32 vcc, s[22:23], v[6:7]
	s_addc_u32 s21, s21, 0
	s_cbranch_vccnz .LBB0_9
; %bb.7:                                ;   in Loop: Header=BB0_2 Depth=1
	v_mov_b64_e32 v[6:7], v[26:27]
	s_branch .LBB0_2
.LBB0_8:
	v_mov_b64_e32 v[24:25], v[2:3]
	v_mov_b64_e32 v[26:27], v[6:7]
.LBB0_9:
	s_load_dwordx2 s[18:19], s[0:1], 0x28
	s_lshl_b64 s[16:17], s[10:11], 3
	s_add_u32 s2, s14, s16
	s_addc_u32 s3, s15, s17
                                        ; implicit-def: $vgpr28
	s_waitcnt lgkmcnt(0)
	v_cmp_gt_u64_e64 s[0:1], s[18:19], v[26:27]
	v_cmp_le_u64_e32 vcc, s[18:19], v[26:27]
	s_and_saveexec_b64 s[10:11], vcc
	s_xor_b64 s[10:11], exec, s[10:11]
; %bb.10:
	s_mov_b32 s14, 0x1a41a42
	v_mul_hi_u32 v1, v0, s14
	v_mul_u32_u24_e32 v1, 0x9c, v1
	v_sub_u32_e32 v28, v0, v1
                                        ; implicit-def: $vgpr0
                                        ; implicit-def: $vgpr2_vgpr3
; %bb.11:
	s_andn2_saveexec_b64 s[10:11], s[10:11]
	s_cbranch_execz .LBB0_13
; %bb.12:
	s_add_u32 s12, s12, s16
	s_addc_u32 s13, s13, s17
	s_load_dwordx2 s[12:13], s[12:13], 0x0
	s_mov_b32 s14, 0x1a41a42
	s_waitcnt lgkmcnt(0)
	v_mul_lo_u32 v1, s13, v26
	v_mul_lo_u32 v6, s12, v27
	v_mad_u64_u32 v[4:5], s[12:13], s12, v26, 0
	v_add3_u32 v5, v5, v6, v1
	v_mul_hi_u32 v1, v0, s14
	v_mul_u32_u24_e32 v1, 0x9c, v1
	v_sub_u32_e32 v28, v0, v1
	v_lshl_add_u64 v[0:1], v[4:5], 3, s[4:5]
	v_lshl_add_u64 v[0:1], v[2:3], 3, v[0:1]
	v_lshlrev_b32_e32 v2, 3, v28
	v_mov_b32_e32 v3, 0
	v_lshl_add_u64 v[0:1], v[0:1], 0, v[2:3]
	s_movk_i32 s4, 0x1000
	v_add_co_u32_e32 v12, vcc, s4, v0
	global_load_dwordx2 v[4:5], v[0:1], off
	global_load_dwordx2 v[6:7], v[0:1], off offset:1248
	global_load_dwordx2 v[8:9], v[0:1], off offset:2496
	;; [unrolled: 1-line block ×3, first 2 shown]
	v_addc_co_u32_e32 v13, vcc, 0, v1, vcc
	v_add_co_u32_e32 v14, vcc, 0x2000, v0
	s_nop 1
	v_addc_co_u32_e32 v15, vcc, 0, v1, vcc
	v_add_co_u32_e32 v0, vcc, 0x3000, v0
	global_load_dwordx2 v[16:17], v[12:13], off offset:896
	global_load_dwordx2 v[18:19], v[12:13], off offset:2144
	;; [unrolled: 1-line block ×4, first 2 shown]
	v_addc_co_u32_e32 v1, vcc, 0, v1, vcc
	global_load_dwordx2 v[12:13], v[14:15], off offset:1792
	global_load_dwordx2 v[30:31], v[14:15], off offset:3040
	;; [unrolled: 1-line block ×3, first 2 shown]
	v_add_u32_e32 v0, 0, v2
	v_add_u32_e32 v1, 0x800, v0
	;; [unrolled: 1-line block ×5, first 2 shown]
	s_waitcnt vmcnt(9)
	ds_write2_b64 v0, v[4:5], v[6:7] offset1:156
	s_waitcnt vmcnt(7)
	ds_write2_b64 v1, v[8:9], v[10:11] offset0:56 offset1:212
	s_waitcnt vmcnt(5)
	ds_write2_b64 v2, v[16:17], v[18:19] offset0:48 offset1:204
	;; [unrolled: 2-line block ×4, first 2 shown]
	s_waitcnt vmcnt(0)
	ds_write_b64 v0, v[32:33] offset:12480
.LBB0_13:
	s_or_b64 exec, exec, s[10:11]
	v_lshl_add_u32 v120, v28, 3, 0
	v_add_u32_e32 v0, 0x800, v120
	s_waitcnt lgkmcnt(0)
	s_barrier
	ds_read2_b64 v[8:11], v0 offset0:8 offset1:140
	ds_read_b64 v[68:69], v120 offset:12672
	ds_read2_b64 v[0:3], v120 offset1:132
	v_add_u32_e32 v29, 0x2800, v120
	ds_read2_b64 v[4:7], v29 offset0:40 offset1:172
	s_mov_b32 s4, 0x3df6dbef
	s_mov_b32 s5, 0xbf7e222b
	s_waitcnt lgkmcnt(1)
	v_pk_add_f32 v[42:43], v[68:69], v[2:3]
	v_pk_add_f32 v[44:45], v[2:3], v[68:69] neg_lo:[0,1] neg_hi:[0,1]
	s_mov_b32 s12, 0xbf788fa5
	s_waitcnt lgkmcnt(0)
	v_pk_add_f32 v[38:39], v[6:7], v[8:9]
	v_pk_add_f32 v[40:41], v[8:9], v[6:7] neg_lo:[0,1] neg_hi:[0,1]
	v_mov_b32_e32 v20, v45
	v_mov_b32_e32 v21, v43
	s_mov_b32 s10, s5
	s_mov_b32 s11, s4
	;; [unrolled: 1-line block ×3, first 2 shown]
	v_pk_mul_f32 v[50:51], v[20:21], s[10:11]
	v_mov_b32_e32 v72, v42
	v_mov_b32_e32 v73, v44
	;; [unrolled: 1-line block ×4, first 2 shown]
	s_mov_b32 s20, s13
	s_mov_b32 s21, s12
	v_pk_fma_f32 v[12:13], v[72:73], s[4:5], v[50:51] neg_lo:[0,0,1] neg_hi:[0,0,1]
	v_pk_fma_f32 v[54:55], v[72:73], s[4:5], v[50:51]
	v_pk_mul_f32 v[58:59], v[22:23], s[20:21]
	v_mov_b32_e32 v74, v38
	v_mov_b32_e32 v75, v40
	;; [unrolled: 1-line block ×3, first 2 shown]
	v_pk_fma_f32 v[14:15], v[74:75], s[12:13], v[58:59] neg_lo:[0,0,1] neg_hi:[0,0,1]
	v_pk_fma_f32 v[60:61], v[74:75], s[12:13], v[58:59]
	v_pk_add_f32 v[12:13], v[0:1], v[12:13]
	v_mov_b32_e32 v15, v61
	v_add_u32_e32 v16, 0x1000, v120
	v_pk_add_f32 v[30:31], v[14:15], v[12:13]
	v_add_u32_e32 v12, 0x2000, v120
	v_pk_add_f32 v[34:35], v[4:5], v[10:11]
	v_pk_add_f32 v[36:37], v[10:11], v[4:5] neg_lo:[0,1] neg_hi:[0,1]
	s_mov_b32 s10, 0xbeb58ec6
	ds_read2_b64 v[16:19], v16 offset0:16 offset1:148
	ds_read2_b64 v[12:15], v12 offset0:32 offset1:164
	s_mov_b32 s16, 0x3f116cb1
	v_mov_b32_e32 v32, v37
	v_mov_b32_e32 v33, v35
	s_mov_b32 s14, 0x3f6f5d39
	s_mov_b32 s15, s10
	;; [unrolled: 1-line block ×3, first 2 shown]
	v_pk_mul_f32 v[64:65], v[32:33], s[14:15]
	v_mov_b32_e32 v80, v34
	v_mov_b32_e32 v81, v36
	s_mov_b32 s11, s14
	s_mov_b32 s24, s17
	;; [unrolled: 1-line block ×4, first 2 shown]
	v_pk_fma_f32 v[46:47], v[80:81], s[10:11], v[64:65] neg_lo:[0,0,1] neg_hi:[0,0,1]
	v_pk_fma_f32 v[70:71], v[80:81], s[10:11], v[64:65]
	v_pk_mul_f32 v[88:89], v[20:21], s[24:25]
	s_mov_b32 s22, s27
	s_mov_b32 s23, s10
	v_mov_b32_e32 v47, v71
	s_mov_b32 s14, 0x3f62ad3f
	v_pk_fma_f32 v[20:21], v[72:73], s[16:17], v[88:89] neg_lo:[0,0,1] neg_hi:[0,0,1]
	v_pk_fma_f32 v[84:85], v[72:73], s[16:17], v[88:89]
	v_pk_mul_f32 v[90:91], v[22:23], s[22:23]
	s_mov_b32 s26, s10
	v_pk_add_f32 v[30:31], v[46:47], v[30:31]
	s_waitcnt lgkmcnt(0)
	v_pk_add_f32 v[46:47], v[14:15], v[16:17]
	v_pk_add_f32 v[48:49], v[16:17], v[14:15] neg_lo:[0,1] neg_hi:[0,1]
	s_mov_b32 s15, 0x3eedf032
	v_mov_b32_e32 v21, v85
	v_pk_fma_f32 v[22:23], v[74:75], s[26:27], v[90:91] neg_lo:[0,0,1] neg_hi:[0,0,1]
	v_pk_fma_f32 v[86:87], v[74:75], s[26:27], v[90:91]
	v_pk_mul_f32 v[96:97], v[32:33], s[20:21]
	s_mov_b32 s20, 0xbf3f9e67
	v_mov_b32_e32 v52, v49
	v_mov_b32_e32 v53, v47
	s_mov_b32 s18, s15
	s_mov_b32 s19, s14
	v_mov_b32_e32 v23, v87
	v_pk_add_f32 v[20:21], v[0:1], v[20:21]
	s_mov_b32 s21, 0x3f29c268
	v_mov_b32_e32 v82, v46
	v_mov_b32_e32 v83, v48
	v_pk_mul_f32 v[76:77], v[52:53], s[18:19]
	v_pk_add_f32 v[20:21], v[22:23], v[20:21]
	v_pk_fma_f32 v[22:23], v[80:81], s[12:13], v[96:97] neg_lo:[0,0,1] neg_hi:[0,0,1]
	v_pk_fma_f32 v[94:95], v[80:81], s[12:13], v[96:97]
	s_mov_b32 s22, s21
	s_mov_b32 s23, s20
	v_pk_fma_f32 v[56:57], v[82:83], s[14:15], v[76:77] neg_lo:[0,0,1] neg_hi:[0,0,1]
	v_pk_fma_f32 v[78:79], v[82:83], s[14:15], v[76:77]
	v_mov_b32_e32 v23, v95
	v_pk_mul_f32 v[102:103], v[52:53], s[22:23]
	v_mov_b32_e32 v57, v79
	v_pk_add_f32 v[20:21], v[22:23], v[20:21]
	v_pk_fma_f32 v[22:23], v[82:83], s[20:21], v[102:103] neg_lo:[0,0,1] neg_hi:[0,0,1]
	v_pk_fma_f32 v[100:101], v[82:83], s[20:21], v[102:103]
	v_pk_add_f32 v[30:31], v[56:57], v[30:31]
	v_mov_b32_e32 v23, v101
	v_pk_add_f32 v[52:53], v[12:13], v[18:19]
	v_pk_add_f32 v[56:57], v[18:19], v[12:13] neg_lo:[0,1] neg_hi:[0,1]
	s_mov_b32 s23, 0x3f7e222b
	v_pk_add_f32 v[20:21], v[22:23], v[20:21]
	v_mov_b32_e32 v22, v57
	v_mov_b32_e32 v23, v53
	s_mov_b32 s28, s23
	s_mov_b32 s29, s4
	v_mov_b32_e32 v112, v52
	v_mov_b32_e32 v113, v56
	s_mov_b32 s22, s4
	v_pk_mul_f32 v[106:107], v[22:23], s[28:29]
	v_pk_mul_f32 v[92:93], v[22:23], s[24:25]
	v_pk_fma_f32 v[32:33], v[112:113], s[22:23], v[106:107] neg_lo:[0,0,1] neg_hi:[0,0,1]
	v_pk_fma_f32 v[104:105], v[112:113], s[22:23], v[106:107]
	v_pk_fma_f32 v[62:63], v[112:113], s[16:17], v[92:93] neg_lo:[0,0,1] neg_hi:[0,0,1]
	v_mov_b32_e32 v33, v105
	v_pk_add_f32 v[32:33], v[32:33], v[20:21]
	v_add_u32_e32 v20, 0x1800, v120
	ds_read2_b64 v[20:23], v20 offset0:24 offset1:156
	v_pk_fma_f32 v[98:99], v[112:113], s[16:17], v[92:93]
	s_mov_b32 s39, 0xbf29c268
	v_mov_b32_e32 v63, v99
	v_pk_add_f32 v[30:31], v[62:63], v[30:31]
	s_waitcnt lgkmcnt(0)
	v_pk_add_f32 v[62:63], v[22:23], v[20:21]
	v_pk_add_f32 v[66:67], v[20:21], v[22:23] neg_lo:[0,1] neg_hi:[0,1]
	v_mov_b32_e32 v109, v63
	v_mov_b32_e32 v108, v67
	v_mov_b32_e32 v118, v62
	v_mov_b32_e32 v119, v66
	v_pk_mul_f32 v[116:117], v[108:109], s[18:19]
	s_mov_b32 s18, s39
	v_pk_fma_f32 v[110:111], v[118:119], s[14:15], v[116:117] neg_lo:[0,0,1] neg_hi:[0,0,1]
	v_pk_fma_f32 v[114:115], v[118:119], s[14:15], v[116:117]
	s_mov_b32 s19, s20
	v_mov_b32_e32 v111, v115
	v_pk_mul_f32 v[108:109], v[108:109], s[18:19]
	s_mov_b32 s38, s20
	v_pk_add_f32 v[32:33], v[110:111], v[32:33]
	v_pk_fma_f32 v[122:123], v[118:119], s[38:39], v[108:109] neg_lo:[0,0,1] neg_hi:[0,0,1]
	v_pk_fma_f32 v[110:111], v[118:119], s[38:39], v[108:109]
	s_movk_i32 s18, 0x84
	v_mov_b32_e32 v123, v111
	v_pk_add_f32 v[30:31], v[122:123], v[30:31]
	v_cmp_gt_u32_e32 vcc, s18, v28
	s_barrier
	s_and_saveexec_b64 s[18:19], vcc
	s_cbranch_execz .LBB0_15
; %bb.14:
	v_pk_add_f32 v[2:3], v[0:1], v[2:3]
	s_mov_b32 s24, 0xbeedf032
	v_pk_add_f32 v[2:3], v[2:3], v[8:9]
	v_pk_mul_f32 v[122:123], v[44:45], s[24:25] op_sel_hi:[1,0]
	v_pk_add_f32 v[2:3], v[2:3], v[10:11]
	s_mov_b32 s34, s17
	v_pk_add_f32 v[2:3], v[2:3], v[16:17]
	v_pk_mul_f32 v[124:125], v[40:41], s[34:35] op_sel_hi:[1,0]
	v_pk_add_f32 v[2:3], v[2:3], v[18:19]
	s_mov_b32 s36, s5
	v_pk_add_f32 v[2:3], v[2:3], v[20:21]
	v_pk_fma_f32 v[8:9], v[38:39], s[16:17], v[124:125] op_sel:[0,0,1] op_sel_hi:[1,0,0] neg_lo:[0,0,1] neg_hi:[0,0,1]
	v_pk_add_f32 v[2:3], v[2:3], v[22:23]
	v_pk_mul_f32 v[126:127], v[36:37], s[36:37] op_sel_hi:[1,0]
	v_pk_add_f32 v[2:3], v[2:3], v[12:13]
	v_mov_b32_e32 v13, v9
	v_pk_add_f32 v[2:3], v[2:3], v[14:15]
	s_mov_b32 s24, s27
	v_pk_add_f32 v[2:3], v[2:3], v[4:5]
	v_pk_fma_f32 v[4:5], v[42:43], s[14:15], v[122:123] op_sel:[0,0,1] op_sel_hi:[1,0,0] neg_lo:[0,0,1] neg_hi:[0,0,1]
	v_pk_add_f32 v[2:3], v[2:3], v[6:7]
	v_mov_b32_e32 v7, v5
	v_pk_add_f32 v[134:135], v[2:3], v[68:69]
	v_pk_fma_f32 v[2:3], v[42:43], s[14:15], v[122:123] op_sel:[0,0,1] op_sel_hi:[1,0,0]
	v_pk_mul_f32 v[128:129], v[48:49], s[24:25] op_sel_hi:[1,0]
	v_mov_b32_e32 v6, v2
	v_pk_add_f32 v[10:11], v[0:1], v[6:7]
	v_pk_fma_f32 v[6:7], v[38:39], s[16:17], v[124:125] op_sel:[0,0,1] op_sel_hi:[1,0,0]
	s_mov_b32 s28, s39
	v_mov_b32_e32 v12, v6
	v_pk_add_f32 v[14:15], v[12:13], v[10:11]
	v_pk_fma_f32 v[10:11], v[34:35], s[4:5], v[126:127] op_sel:[0,0,1] op_sel_hi:[1,0,0]
	v_pk_fma_f32 v[12:13], v[34:35], s[4:5], v[126:127] op_sel:[0,0,1] op_sel_hi:[1,0,0] neg_lo:[0,0,1] neg_hi:[0,0,1]
	v_mov_b32_e32 v16, v10
	v_mov_b32_e32 v17, v13
	v_pk_add_f32 v[18:19], v[16:17], v[14:15]
	v_pk_fma_f32 v[14:15], v[46:47], s[10:11], v[128:129] op_sel:[0,0,1] op_sel_hi:[1,0,0]
	v_pk_fma_f32 v[16:17], v[46:47], s[10:11], v[128:129] op_sel:[0,0,1] op_sel_hi:[1,0,0] neg_lo:[0,0,1] neg_hi:[0,0,1]
	v_pk_mul_f32 v[130:131], v[56:57], s[28:29] op_sel_hi:[1,0]
	v_mov_b32_e32 v20, v14
	v_mov_b32_e32 v21, v17
	s_mov_b32 s30, s13
	v_pk_add_f32 v[22:23], v[20:21], v[18:19]
	v_pk_fma_f32 v[18:19], v[52:53], s[20:21], v[130:131] op_sel:[0,0,1] op_sel_hi:[1,0,0]
	v_pk_fma_f32 v[20:21], v[52:53], s[20:21], v[130:131] op_sel:[0,0,1] op_sel_hi:[1,0,0] neg_lo:[0,0,1] neg_hi:[0,0,1]
	v_pk_mul_f32 v[132:133], v[66:67], s[30:31] op_sel_hi:[1,0]
	v_mov_b32_e32 v68, v18
	v_mov_b32_e32 v69, v21
	v_pk_add_f32 v[122:123], v[68:69], v[22:23]
	v_pk_fma_f32 v[22:23], v[62:63], s[12:13], v[132:133] op_sel:[0,0,1] op_sel_hi:[1,0,0]
	v_pk_fma_f32 v[68:69], v[62:63], s[12:13], v[132:133] op_sel:[0,0,1] op_sel_hi:[1,0,0] neg_lo:[0,0,1] neg_hi:[0,0,1]
	v_mov_b32_e32 v124, v22
	v_mov_b32_e32 v125, v69
	s_movk_i32 s25, 0x60
	v_pk_add_f32 v[122:123], v[124:125], v[122:123]
	v_mad_u32_u24 v2, v28, s25, v120
	ds_write2_b64 v2, v[134:135], v[122:123] offset1:1
	v_pk_mul_f32 v[122:123], v[72:73], s[4:5]
	v_pk_mul_f32 v[72:73], v[72:73], s[16:17]
	v_pk_add_f32 v[50:51], v[50:51], v[122:123] neg_lo:[0,1] neg_hi:[0,1]
	v_pk_mul_f32 v[124:125], v[74:75], s[12:13]
	v_pk_add_f32 v[72:73], v[88:89], v[72:73] neg_lo:[0,1] neg_hi:[0,1]
	v_pk_mul_f32 v[74:75], v[74:75], s[26:27]
	v_mov_b32_e32 v55, v51
	v_pk_mul_f32 v[88:89], v[80:81], s[10:11]
	v_mov_b32_e32 v85, v73
	v_pk_mul_f32 v[80:81], v[80:81], s[12:13]
	v_pk_add_f32 v[74:75], v[90:91], v[74:75] neg_lo:[0,1] neg_hi:[0,1]
	v_pk_add_f32 v[50:51], v[0:1], v[54:55]
	v_pk_add_f32 v[54:55], v[58:59], v[124:125] neg_lo:[0,1] neg_hi:[0,1]
	v_pk_mul_f32 v[72:73], v[82:83], s[14:15]
	v_pk_mul_f32 v[82:83], v[82:83], s[20:21]
	v_mov_b32_e32 v87, v75
	v_pk_add_f32 v[84:85], v[0:1], v[84:85]
	v_pk_add_f32 v[80:81], v[96:97], v[80:81] neg_lo:[0,1] neg_hi:[0,1]
	v_mov_b32_e32 v61, v55
	v_pk_add_f32 v[54:55], v[64:65], v[88:89] neg_lo:[0,1] neg_hi:[0,1]
	v_pk_mul_f32 v[90:91], v[112:113], s[22:23]
	v_pk_mul_f32 v[112:113], v[112:113], s[16:17]
	v_pk_add_f32 v[84:85], v[86:87], v[84:85]
	v_mov_b32_e32 v95, v81
	v_pk_add_f32 v[82:83], v[102:103], v[82:83] neg_lo:[0,1] neg_hi:[0,1]
	v_pk_add_f32 v[50:51], v[60:61], v[50:51]
	v_mov_b32_e32 v71, v55
	v_pk_add_f32 v[54:55], v[76:77], v[72:73] neg_lo:[0,1] neg_hi:[0,1]
	v_pk_mul_f32 v[74:75], v[118:119], s[14:15]
	v_pk_mul_f32 v[118:119], v[118:119], s[38:39]
	v_pk_add_f32 v[80:81], v[94:95], v[84:85]
	v_mov_b32_e32 v101, v83
	v_pk_add_f32 v[82:83], v[106:107], v[90:91] neg_lo:[0,1] neg_hi:[0,1]
	v_pk_add_f32 v[50:51], v[70:71], v[50:51]
	v_mov_b32_e32 v79, v55
	v_pk_add_f32 v[54:55], v[92:93], v[112:113] neg_lo:[0,1] neg_hi:[0,1]
	;; [unrolled: 3-line block ×4, first 2 shown]
	v_pk_add_f32 v[80:81], v[104:105], v[80:81]
	v_mov_b32_e32 v115, v75
	v_pk_add_f32 v[50:51], v[98:99], v[50:51]
	v_mov_b32_e32 v111, v55
	v_pk_add_f32 v[74:75], v[114:115], v[80:81]
	v_pk_add_f32 v[50:51], v[110:111], v[50:51]
	ds_write2_b64 v2, v[74:75], v[50:51] offset0:2 offset1:3
	v_pk_mul_f32 v[50:51], v[44:45], s[24:25] op_sel_hi:[1,0]
	s_mov_b32 s22, s21
	v_pk_fma_f32 v[54:55], v[42:43], s[10:11], v[50:51] op_sel:[0,0,1] op_sel_hi:[1,0,0]
	v_pk_fma_f32 v[50:51], v[42:43], s[10:11], v[50:51] op_sel:[0,0,1] op_sel_hi:[1,0,0] neg_lo:[0,0,1] neg_hi:[0,0,1]
	v_pk_mul_f32 v[60:61], v[40:41], s[22:23] op_sel_hi:[1,0]
	v_mov_b32_e32 v58, v54
	v_mov_b32_e32 v59, v51
	v_pk_fma_f32 v[64:65], v[38:39], s[20:21], v[60:61] op_sel:[0,0,1] op_sel_hi:[1,0,0]
	v_pk_fma_f32 v[60:61], v[38:39], s[20:21], v[60:61] op_sel:[0,0,1] op_sel_hi:[1,0,0] neg_lo:[0,0,1] neg_hi:[0,0,1]
	v_pk_add_f32 v[58:59], v[0:1], v[58:59]
	v_mov_b32_e32 v70, v64
	v_mov_b32_e32 v71, v61
	s_mov_b32 s22, s15
	v_pk_add_f32 v[58:59], v[70:71], v[58:59]
	v_pk_mul_f32 v[70:71], v[36:37], s[22:23] op_sel_hi:[1,0]
	s_mov_b32 s26, 0x3e750f2a
	v_pk_fma_f32 v[72:73], v[34:35], s[14:15], v[70:71] op_sel:[0,0,1] op_sel_hi:[1,0,0]
	v_pk_fma_f32 v[70:71], v[34:35], s[14:15], v[70:71] op_sel:[0,0,1] op_sel_hi:[1,0,0] neg_lo:[0,0,1] neg_hi:[0,0,1]
	v_mov_b32_e32 v74, v72
	v_mov_b32_e32 v75, v71
	v_pk_add_f32 v[58:59], v[74:75], v[58:59]
	v_pk_mul_f32 v[74:75], v[48:49], s[36:37] op_sel_hi:[1,0]
	s_mov_b32 s36, 0x3f52af12
	v_pk_fma_f32 v[76:77], v[46:47], s[4:5], v[74:75] op_sel:[0,0,1] op_sel_hi:[1,0,0]
	v_pk_fma_f32 v[74:75], v[46:47], s[4:5], v[74:75] op_sel:[0,0,1] op_sel_hi:[1,0,0] neg_lo:[0,0,1] neg_hi:[0,0,1]
	v_mov_b32_e32 v78, v76
	v_mov_b32_e32 v79, v75
	;; [unrolled: 7-line block ×3, first 2 shown]
	v_pk_add_f32 v[58:59], v[82:83], v[58:59]
	v_pk_mul_f32 v[82:83], v[66:67], s[36:37] op_sel_hi:[1,0]
	v_pk_mul_f32 v[92:93], v[40:41], s[38:39] op_sel_hi:[1,0]
	v_pk_fma_f32 v[84:85], v[62:63], s[16:17], v[82:83] op_sel:[0,0,1] op_sel_hi:[1,0,0]
	v_pk_fma_f32 v[82:83], v[62:63], s[16:17], v[82:83] op_sel:[0,0,1] op_sel_hi:[1,0,0] neg_lo:[0,0,1] neg_hi:[0,0,1]
	v_mov_b32_e32 v86, v84
	v_mov_b32_e32 v87, v83
	v_pk_add_f32 v[58:59], v[86:87], v[58:59]
	v_pk_mul_f32 v[86:87], v[44:45], s[28:29] op_sel_hi:[1,0]
	v_pk_fma_f32 v[94:95], v[38:39], s[4:5], v[92:93] op_sel:[0,0,1] op_sel_hi:[1,0,0]
	v_pk_fma_f32 v[88:89], v[42:43], s[20:21], v[86:87] op_sel:[0,0,1] op_sel_hi:[1,0,0]
	v_pk_fma_f32 v[86:87], v[42:43], s[20:21], v[86:87] op_sel:[0,0,1] op_sel_hi:[1,0,0] neg_lo:[0,0,1] neg_hi:[0,0,1]
	v_mov_b32_e32 v90, v88
	v_mov_b32_e32 v91, v87
	v_pk_fma_f32 v[92:93], v[38:39], s[4:5], v[92:93] op_sel:[0,0,1] op_sel_hi:[1,0,0] neg_lo:[0,0,1] neg_hi:[0,0,1]
	v_pk_add_f32 v[90:91], v[0:1], v[90:91]
	v_mov_b32_e32 v96, v94
	v_mov_b32_e32 v97, v93
	v_pk_add_f32 v[90:91], v[96:97], v[90:91]
	v_pk_mul_f32 v[96:97], v[36:37], s[34:35] op_sel_hi:[1,0]
	v_pk_mul_f32 v[44:45], v[44:45], s[30:31] op_sel_hi:[1,0]
	v_pk_fma_f32 v[98:99], v[34:35], s[16:17], v[96:97] op_sel:[0,0,1] op_sel_hi:[1,0,0]
	v_pk_fma_f32 v[96:97], v[34:35], s[16:17], v[96:97] op_sel:[0,0,1] op_sel_hi:[1,0,0] neg_lo:[0,0,1] neg_hi:[0,0,1]
	v_mov_b32_e32 v100, v98
	v_mov_b32_e32 v101, v97
	v_pk_add_f32 v[90:91], v[100:101], v[90:91]
	v_pk_mul_f32 v[100:101], v[48:49], s[26:27] op_sel_hi:[1,0]
	v_pk_mul_f32 v[40:41], v[40:41], s[22:23] op_sel_hi:[1,0]
	v_pk_fma_f32 v[102:103], v[46:47], s[12:13], v[100:101] op_sel:[0,0,1] op_sel_hi:[1,0,0]
	v_pk_fma_f32 v[100:101], v[46:47], s[12:13], v[100:101] op_sel:[0,0,1] op_sel_hi:[1,0,0] neg_lo:[0,0,1] neg_hi:[0,0,1]
	;; [unrolled: 7-line block ×3, first 2 shown]
	v_mov_b32_e32 v108, v106
	v_mov_b32_e32 v109, v105
	v_pk_add_f32 v[90:91], v[108:109], v[90:91]
	v_pk_mul_f32 v[108:109], v[66:67], s[24:25] op_sel_hi:[1,0]
	v_mov_b32_e32 v87, v89
	v_pk_fma_f32 v[110:111], v[62:63], s[10:11], v[108:109] op_sel:[0,0,1] op_sel_hi:[1,0,0]
	v_pk_fma_f32 v[108:109], v[62:63], s[10:11], v[108:109] op_sel:[0,0,1] op_sel_hi:[1,0,0] neg_lo:[0,0,1] neg_hi:[0,0,1]
	v_mov_b32_e32 v112, v110
	v_mov_b32_e32 v113, v109
	v_pk_add_f32 v[90:91], v[112:113], v[90:91]
	ds_write2_b64 v2, v[58:59], v[90:91] offset0:4 offset1:5
	v_pk_fma_f32 v[58:59], v[42:43], s[12:13], v[44:45] op_sel:[0,0,1] op_sel_hi:[1,0,0]
	v_pk_fma_f32 v[42:43], v[42:43], s[12:13], v[44:45] op_sel:[0,0,1] op_sel_hi:[1,0,0] neg_lo:[0,0,1] neg_hi:[0,0,1]
	v_mov_b32_e32 v44, v58
	v_mov_b32_e32 v45, v43
	v_pk_fma_f32 v[90:91], v[38:39], s[14:15], v[40:41] op_sel:[0,0,1] op_sel_hi:[1,0,0]
	v_pk_fma_f32 v[38:39], v[38:39], s[14:15], v[40:41] op_sel:[0,0,1] op_sel_hi:[1,0,0] neg_lo:[0,0,1] neg_hi:[0,0,1]
	v_pk_add_f32 v[44:45], v[0:1], v[44:45]
	v_mov_b32_e32 v40, v90
	v_mov_b32_e32 v41, v39
	v_pk_add_f32 v[40:41], v[40:41], v[44:45]
	v_pk_fma_f32 v[44:45], v[34:35], s[20:21], v[36:37] op_sel:[0,0,1] op_sel_hi:[1,0,0]
	v_pk_fma_f32 v[34:35], v[34:35], s[20:21], v[36:37] op_sel:[0,0,1] op_sel_hi:[1,0,0] neg_lo:[0,0,1] neg_hi:[0,0,1]
	v_mov_b32_e32 v36, v44
	v_mov_b32_e32 v37, v35
	v_pk_add_f32 v[36:37], v[36:37], v[40:41]
	v_pk_mul_f32 v[40:41], v[48:49], s[36:37] op_sel_hi:[1,0]
	v_mov_b32_e32 v43, v59
	v_pk_fma_f32 v[48:49], v[46:47], s[16:17], v[40:41] op_sel:[0,0,1] op_sel_hi:[1,0,0]
	v_pk_fma_f32 v[40:41], v[46:47], s[16:17], v[40:41] op_sel:[0,0,1] op_sel_hi:[1,0,0] neg_lo:[0,0,1] neg_hi:[0,0,1]
	v_mov_b32_e32 v46, v48
	v_mov_b32_e32 v47, v41
	v_pk_add_f32 v[36:37], v[46:47], v[36:37]
	v_pk_mul_f32 v[46:47], v[56:57], s[24:25] op_sel_hi:[1,0]
	v_pk_add_f32 v[42:43], v[0:1], v[42:43]
	v_pk_fma_f32 v[56:57], v[52:53], s[10:11], v[46:47] op_sel:[0,0,1] op_sel_hi:[1,0,0]
	v_pk_fma_f32 v[46:47], v[52:53], s[10:11], v[46:47] op_sel:[0,0,1] op_sel_hi:[1,0,0] neg_lo:[0,0,1] neg_hi:[0,0,1]
	v_mov_b32_e32 v39, v91
	v_mov_b32_e32 v52, v56
	;; [unrolled: 1-line block ×3, first 2 shown]
	v_pk_add_f32 v[38:39], v[38:39], v[42:43]
	v_mov_b32_e32 v35, v45
	v_pk_add_f32 v[36:37], v[52:53], v[36:37]
	v_pk_mul_f32 v[52:53], v[66:67], s[38:39] op_sel_hi:[1,0]
	v_pk_add_f32 v[34:35], v[34:35], v[38:39]
	v_mov_b32_e32 v41, v49
	v_pk_fma_f32 v[66:67], v[62:63], s[4:5], v[52:53] op_sel:[0,0,1] op_sel_hi:[1,0,0]
	v_pk_fma_f32 v[52:53], v[62:63], s[4:5], v[52:53] op_sel:[0,0,1] op_sel_hi:[1,0,0] neg_lo:[0,0,1] neg_hi:[0,0,1]
	v_pk_add_f32 v[34:35], v[40:41], v[34:35]
	v_mov_b32_e32 v47, v57
	v_mov_b32_e32 v62, v66
	;; [unrolled: 1-line block ×3, first 2 shown]
	v_pk_add_f32 v[34:35], v[46:47], v[34:35]
	v_mov_b32_e32 v53, v67
	v_pk_add_f32 v[36:37], v[62:63], v[36:37]
	v_pk_add_f32 v[34:35], v[52:53], v[34:35]
	v_mov_b32_e32 v51, v55
	v_mov_b32_e32 v5, v3
	ds_write2_b64 v2, v[36:37], v[34:35] offset0:6 offset1:7
	v_pk_add_f32 v[34:35], v[0:1], v[86:87]
	v_mov_b32_e32 v93, v95
	v_pk_add_f32 v[36:37], v[0:1], v[50:51]
	v_mov_b32_e32 v61, v65
	;; [unrolled: 2-line block ×15, first 2 shown]
	v_pk_add_f32 v[34:35], v[108:109], v[34:35]
	v_pk_add_f32 v[36:37], v[82:83], v[36:37]
	;; [unrolled: 1-line block ×3, first 2 shown]
	ds_write2_b64 v2, v[34:35], v[36:37] offset0:8 offset1:9
	ds_write2_b64 v2, v[30:31], v[32:33] offset0:10 offset1:11
	ds_write_b64 v2, v[0:1] offset:96
.LBB0_15:
	s_or_b64 exec, exec, s[18:19]
	v_add_u32_e32 v18, 0x138, v28
	v_add_u32_e32 v4, 0x1300, v120
	;; [unrolled: 1-line block ×4, first 2 shown]
	v_lshl_add_u32 v35, v18, 3, 0
	s_waitcnt lgkmcnt(0)
	s_barrier
	ds_read2_b64 v[0:3], v120 offset1:156
	ds_read2_b64 v[4:7], v4 offset0:16 offset1:250
	ds_read2_b64 v[8:11], v8 offset0:54 offset1:210
	v_lshl_add_u32 v34, v16, 3, 0
	ds_read_b64 v[20:21], v35
	ds_read_b64 v[22:23], v34
	ds_read2_b64 v[12:15], v29 offset0:46 offset1:202
	s_movk_i32 s4, 0x4e
	v_cmp_gt_u32_e32 vcc, s4, v28
	s_and_saveexec_b64 s[4:5], vcc
	s_cbranch_execz .LBB0_17
; %bb.16:
	ds_read_b64 v[30:31], v120 offset:6240
	ds_read_b64 v[32:33], v120 offset:13104
.LBB0_17:
	s_or_b64 exec, exec, s[4:5]
	s_movk_i32 s4, 0x4f
	v_add_u32_e32 v17, 0x9c, v28
	v_mul_lo_u16_sdwa v36, v28, s4 dst_sel:DWORD dst_unused:UNUSED_PAD src0_sel:BYTE_0 src1_sel:DWORD
	s_movk_i32 s4, 0x4ec5
	v_mul_u32_u24_sdwa v37, v17, s4 dst_sel:DWORD dst_unused:UNUSED_PAD src0_sel:WORD_0 src1_sel:DWORD
	v_lshrrev_b32_e32 v50, 18, v37
	v_mul_lo_u16_e32 v37, 13, v50
	v_sub_u16_e32 v42, v17, v37
	v_mul_u32_u24_sdwa v37, v18, s4 dst_sel:DWORD dst_unused:UNUSED_PAD src0_sel:WORD_0 src1_sel:DWORD
	v_add_u32_e32 v19, 0x270, v28
	v_lshrrev_b32_e32 v51, 18, v37
	v_mul_lo_u16_e32 v37, 13, v51
	v_mul_u32_u24_sdwa v38, v19, s4 dst_sel:DWORD dst_unused:UNUSED_PAD src0_sel:WORD_0 src1_sel:DWORD
	v_sub_u16_e32 v43, v18, v37
	v_mul_u32_u24_sdwa v37, v16, s4 dst_sel:DWORD dst_unused:UNUSED_PAD src0_sel:WORD_0 src1_sel:DWORD
	v_lshrrev_b32_e32 v53, 18, v38
	v_add_u32_e32 v29, 0x30c, v28
	v_lshrrev_b32_e32 v52, 18, v37
	v_mul_lo_u16_e32 v38, 13, v53
	v_lshrrev_b16_e32 v49, 10, v36
	v_mul_lo_u16_e32 v37, 13, v52
	v_sub_u16_e32 v44, v19, v38
	v_mul_u32_u24_sdwa v19, v29, s4 dst_sel:DWORD dst_unused:UNUSED_PAD src0_sel:WORD_0 src1_sel:DWORD
	v_mul_lo_u16_e32 v36, 13, v49
	v_sub_u16_e32 v37, v16, v37
	v_lshrrev_b32_e32 v19, 18, v19
	v_sub_u16_e32 v36, v28, v36
	v_mul_lo_u16_e32 v38, 13, v19
	v_lshlrev_b32_e32 v54, 3, v37
	v_mov_b32_e32 v37, 3
	v_sub_u16_e32 v29, v29, v38
	v_lshlrev_b32_sdwa v55, v37, v36 dst_sel:DWORD dst_unused:UNUSED_PAD src0_sel:DWORD src1_sel:BYTE_0
	v_lshlrev_b32_e32 v58, 3, v44
	v_lshlrev_b32_e32 v29, 3, v29
	global_load_dwordx2 v[36:37], v55, s[8:9]
	global_load_dwordx2 v[38:39], v54, s[8:9]
	;; [unrolled: 1-line block ×3, first 2 shown]
	v_lshlrev_b32_e32 v56, 3, v42
	v_lshlrev_b32_e32 v57, 3, v43
	global_load_dwordx2 v[42:43], v58, s[8:9]
	global_load_dwordx2 v[44:45], v57, s[8:9]
	global_load_dwordx2 v[46:47], v56, s[8:9]
	s_load_dwordx2 s[4:5], s[2:3], 0x0
	s_mov_b32 s3, 0x5040100
	s_movk_i32 s2, 0xd0
	v_perm_b32 v51, v52, v51, s3
	v_pk_mul_lo_u16 v51, v51, s2 op_sel_hi:[1,0]
	v_mul_u32_u24_e32 v50, 0xd0, v50
	v_mul_u32_u24_e32 v52, 0xd0, v53
	v_and_b32_e32 v53, 0xfff0, v51
	v_lshrrev_b32_e32 v51, 16, v51
	s_waitcnt lgkmcnt(0)
	v_mov_b32_e32 v48, v33
	v_mul_u32_u24_e32 v49, 0xd0, v49
	v_add3_u32 v63, 0, v50, v56
	v_add3_u32 v65, 0, v51, v54
	;; [unrolled: 1-line block ×5, first 2 shown]
	s_barrier
	s_waitcnt vmcnt(5)
	v_pk_mul_f32 v[58:59], v[36:37], v[6:7] op_sel:[0,1]
	s_waitcnt vmcnt(4)
	v_pk_mul_f32 v[50:51], v[38:39], v[12:13] op_sel:[0,1]
	s_waitcnt vmcnt(3)
	v_pk_mul_f32 v[48:49], v[48:49], v[40:41] op_sel_hi:[0,1]
	s_waitcnt vmcnt(2)
	v_pk_mul_f32 v[52:53], v[42:43], v[14:15] op_sel:[0,1]
	s_waitcnt vmcnt(1)
	v_pk_mul_f32 v[54:55], v[44:45], v[10:11] op_sel:[0,1]
	;; [unrolled: 2-line block ×3, first 2 shown]
	v_pk_fma_f32 v[60:61], v[38:39], v[12:13], v[50:51] op_sel:[0,0,1] op_sel_hi:[1,1,0]
	v_pk_fma_f32 v[12:13], v[38:39], v[12:13], v[50:51] op_sel:[0,0,1] op_sel_hi:[1,0,0] neg_lo:[1,0,0] neg_hi:[1,0,0]
	v_pk_fma_f32 v[38:39], v[32:33], v[40:41], v[48:49] op_sel:[0,0,1] op_sel_hi:[1,1,0]
	v_pk_fma_f32 v[32:33], v[32:33], v[40:41], v[48:49] op_sel:[0,0,1] op_sel_hi:[0,1,0] neg_lo:[1,0,0] neg_hi:[1,0,0]
	;; [unrolled: 2-line block ×6, first 2 shown]
	v_mov_b32_e32 v61, v13
	v_mov_b32_e32 v39, v33
	;; [unrolled: 1-line block ×4, first 2 shown]
	v_pk_add_f32 v[8:9], v[22:23], v[60:61] neg_lo:[0,1] neg_hi:[0,1]
	v_mov_b32_e32 v47, v37
	v_mov_b32_e32 v43, v11
	v_pk_add_f32 v[12:13], v[30:31], v[38:39] neg_lo:[0,1] neg_hi:[0,1]
	v_pk_add_f32 v[10:11], v[4:5], v[40:41] neg_lo:[0,1] neg_hi:[0,1]
	v_pk_fma_f32 v[6:7], v[22:23], 2.0, v[8:9] op_sel_hi:[1,0,1] neg_lo:[0,0,1] neg_hi:[0,0,1]
	v_pk_add_f32 v[22:23], v[0:1], v[46:47] neg_lo:[0,1] neg_hi:[0,1]
	v_pk_add_f32 v[32:33], v[20:21], v[42:43] neg_lo:[0,1] neg_hi:[0,1]
	;; [unrolled: 1-line block ×3, first 2 shown]
	v_pk_fma_f32 v[14:15], v[30:31], 2.0, v[12:13] op_sel_hi:[1,0,1] neg_lo:[0,0,1] neg_hi:[0,0,1]
	v_pk_fma_f32 v[4:5], v[4:5], 2.0, v[10:11] op_sel_hi:[1,0,1] neg_lo:[0,0,1] neg_hi:[0,0,1]
	;; [unrolled: 1-line block ×5, first 2 shown]
	ds_write2_b64 v62, v[0:1], v[22:23] offset1:13
	ds_write2_b64 v63, v[2:3], v[38:39] offset1:13
	;; [unrolled: 1-line block ×5, first 2 shown]
	s_and_saveexec_b64 s[2:3], vcc
	s_cbranch_execz .LBB0_19
; %bb.18:
	v_mul_lo_u16_e32 v0, 26, v19
	v_lshlrev_b32_e32 v0, 3, v0
	v_add3_u32 v0, 0, v29, v0
	ds_write2_b64 v0, v[14:15], v[12:13] offset1:13
.LBB0_19:
	s_or_b64 exec, exec, s[2:3]
	s_waitcnt lgkmcnt(0)
	s_barrier
	ds_read_b64 v[0:1], v120
	ds_read_b64 v[32:33], v120 offset:2288
	ds_read_b64 v[30:31], v120 offset:4576
	;; [unrolled: 1-line block ×5, first 2 shown]
	s_movk_i32 s2, 0x82
	v_cmp_gt_u32_e64 s[2:3], s2, v28
	s_and_saveexec_b64 s[10:11], s[2:3]
	s_cbranch_execz .LBB0_21
; %bb.20:
	ds_read_b64 v[6:7], v120 offset:1248
	ds_read_b64 v[8:9], v120 offset:3536
	;; [unrolled: 1-line block ×6, first 2 shown]
.LBB0_21:
	s_or_b64 exec, exec, s[10:11]
	s_movk_i32 s10, 0x4f
	v_mul_lo_u16_sdwa v19, v28, s10 dst_sel:DWORD dst_unused:UNUSED_PAD src0_sel:BYTE_0 src1_sel:DWORD
	v_lshrrev_b16_e32 v19, 11, v19
	v_mul_lo_u16_e32 v29, 26, v19
	v_sub_u16_e32 v29, v28, v29
	v_mov_b32_e32 v36, 5
	v_mul_u32_u24_sdwa v36, v29, v36 dst_sel:DWORD dst_unused:UNUSED_PAD src0_sel:BYTE_0 src1_sel:DWORD
	v_lshlrev_b32_e32 v46, 3, v36
	global_load_dwordx4 v[36:39], v46, s[8:9] offset:104
	global_load_dwordx4 v[40:43], v46, s[8:9] offset:120
	global_load_dwordx2 v[44:45], v46, s[8:9] offset:136
	v_mov_b32_e32 v46, 3
	v_lshlrev_b32_sdwa v29, v46, v29 dst_sel:DWORD dst_unused:UNUSED_PAD src0_sel:DWORD src1_sel:BYTE_0
	s_mov_b32 s12, 0.5
	s_mov_b32 s13, 0x3f5db3d7
	s_mov_b32 s16, s13
	;; [unrolled: 1-line block ×4, first 2 shown]
	s_mov_b32 s10, -0.5
	s_mov_b32 s11, s13
	v_mul_u32_u24_e32 v19, 0x4e0, v19
	v_add3_u32 v19, 0, v19, v29
	s_waitcnt lgkmcnt(0)
	s_barrier
	s_waitcnt vmcnt(2)
	v_pk_mul_f32 v[46:47], v[36:37], v[32:33] op_sel:[0,1]
	v_pk_mul_f32 v[48:49], v[38:39], v[30:31] op_sel:[0,1]
	s_waitcnt vmcnt(1)
	v_pk_mul_f32 v[50:51], v[40:41], v[22:23] op_sel:[0,1]
	v_pk_mul_f32 v[52:53], v[42:43], v[20:21] op_sel:[0,1]
	s_waitcnt vmcnt(0)
	v_pk_mul_f32 v[54:55], v[44:45], v[2:3] op_sel:[0,1]
	v_pk_fma_f32 v[56:57], v[36:37], v[32:33], v[46:47] op_sel:[0,0,1] op_sel_hi:[1,0,0]
	v_pk_fma_f32 v[32:33], v[36:37], v[32:33], v[46:47] op_sel:[0,0,1] op_sel_hi:[1,0,0] neg_lo:[1,0,0] neg_hi:[1,0,0]
	v_pk_fma_f32 v[36:37], v[38:39], v[30:31], v[48:49] op_sel:[0,0,1] op_sel_hi:[1,1,0]
	v_pk_fma_f32 v[30:31], v[38:39], v[30:31], v[48:49] op_sel:[0,0,1] op_sel_hi:[1,0,0] neg_lo:[1,0,0] neg_hi:[1,0,0]
	v_pk_fma_f32 v[38:39], v[40:41], v[22:23], v[50:51] op_sel:[0,0,1] op_sel_hi:[1,1,0]
	v_pk_fma_f32 v[22:23], v[40:41], v[22:23], v[50:51] op_sel:[0,0,1] op_sel_hi:[1,0,0] neg_lo:[1,0,0] neg_hi:[1,0,0]
	v_pk_fma_f32 v[40:41], v[42:43], v[20:21], v[52:53] op_sel:[0,0,1] op_sel_hi:[1,1,0]
	v_pk_fma_f32 v[20:21], v[42:43], v[20:21], v[52:53] op_sel:[0,0,1] op_sel_hi:[1,0,0] neg_lo:[1,0,0] neg_hi:[1,0,0]
	v_pk_fma_f32 v[42:43], v[44:45], v[2:3], v[54:55] op_sel:[0,0,1] op_sel_hi:[1,1,0]
	v_pk_fma_f32 v[2:3], v[44:45], v[2:3], v[54:55] op_sel:[0,0,1] op_sel_hi:[1,0,0] neg_lo:[1,0,0] neg_hi:[1,0,0]
	v_mov_b32_e32 v39, v23
	v_mov_b32_e32 v43, v3
	;; [unrolled: 1-line block ×4, first 2 shown]
	v_pk_add_f32 v[22:23], v[38:39], v[42:43]
	v_mov_b32_e32 v57, v33
	v_mov_b32_e32 v2, v56
	v_pk_add_f32 v[20:21], v[0:1], v[36:37]
	v_pk_add_f32 v[30:31], v[38:39], v[42:43] neg_lo:[0,1] neg_hi:[0,1]
	v_pk_add_f32 v[44:45], v[36:37], v[40:41]
	v_pk_add_f32 v[36:37], v[36:37], v[40:41] neg_lo:[0,1] neg_hi:[0,1]
	v_fmac_f32_e32 v33, -0.5, v23
	v_pk_add_f32 v[38:39], v[56:57], v[38:39]
	v_fmac_f32_e32 v2, -0.5, v22
	v_pk_fma_f32 v[0:1], -0.5, v[44:45], v[0:1] op_sel_hi:[0,1,1]
	v_pk_mul_f32 v[22:23], v[36:37], s[16:17] op_sel_hi:[1,0]
	v_fmamk_f32 v36, v30, 0x3f5db3d7, v33
	v_pk_add_f32 v[20:21], v[20:21], v[40:41]
	v_pk_add_f32 v[38:39], v[38:39], v[42:43]
	v_fmamk_f32 v32, v31, 0xbf5db3d7, v2
	v_fmac_f32_e32 v33, 0xbf5db3d7, v30
	v_pk_add_f32 v[40:41], v[0:1], v[22:23] op_sel:[0,1] op_sel_hi:[1,0] neg_lo:[0,1] neg_hi:[0,1]
	v_pk_add_f32 v[0:1], v[0:1], v[22:23] op_sel:[0,1] op_sel_hi:[1,0]
	v_pk_mul_f32 v[36:37], v[36:37], s[14:15] op_sel_hi:[0,1]
	v_fmac_f32_e32 v2, 0x3f5db3d7, v31
	v_pk_add_f32 v[30:31], v[20:21], v[38:39]
	v_pk_add_f32 v[20:21], v[20:21], v[38:39] neg_lo:[0,1] neg_hi:[0,1]
	v_mov_b32_e32 v22, v40
	v_mov_b32_e32 v23, v1
	;; [unrolled: 1-line block ×4, first 2 shown]
	v_pk_fma_f32 v[40:41], v[32:33], s[12:13], v[36:37] neg_lo:[0,0,1] neg_hi:[0,0,1]
	v_pk_fma_f32 v[32:33], v[32:33], s[12:13], v[36:37] op_sel_hi:[0,1,1]
	v_pk_mul_f32 v[36:37], v[38:39], s[14:15] op_sel_hi:[0,1]
	v_mov_b32_e32 v41, v33
	v_pk_fma_f32 v[2:3], v[2:3], s[10:11], v[36:37] op_sel_hi:[0,1,1] neg_lo:[0,0,1] neg_hi:[0,0,1]
	v_pk_add_f32 v[32:33], v[22:23], v[40:41]
	v_pk_add_f32 v[36:37], v[0:1], v[2:3]
	v_pk_add_f32 v[22:23], v[22:23], v[40:41] neg_lo:[0,1] neg_hi:[0,1]
	v_pk_add_f32 v[0:1], v[0:1], v[2:3] neg_lo:[0,1] neg_hi:[0,1]
	ds_write2_b64 v19, v[30:31], v[32:33] offset1:26
	ds_write2_b64 v19, v[36:37], v[20:21] offset0:52 offset1:78
	ds_write2_b64 v19, v[22:23], v[0:1] offset0:104 offset1:130
	s_and_saveexec_b64 s[16:17], s[2:3]
	s_cbranch_execz .LBB0_23
; %bb.22:
	s_movk_i32 s2, 0x4ec5
	v_mul_u32_u24_sdwa v0, v17, s2 dst_sel:DWORD dst_unused:UNUSED_PAD src0_sel:WORD_0 src1_sel:DWORD
	v_lshrrev_b32_e32 v19, 19, v0
	v_mul_lo_u16_e32 v0, 26, v19
	v_sub_u16_e32 v17, v17, v0
	v_mul_u32_u24_e32 v0, 5, v17
	v_lshlrev_b32_e32 v29, 3, v0
	global_load_dwordx4 v[0:3], v29, s[8:9] offset:104
	global_load_dwordx4 v[20:23], v29, s[8:9] offset:120
	global_load_dwordx2 v[30:31], v29, s[8:9] offset:136
	v_mov_b32_e32 v32, v5
	v_mov_b32_e32 v36, v15
	;; [unrolled: 1-line block ×4, first 2 shown]
	v_mul_lo_u16_e32 v5, 0x9c, v19
	v_mov_b32_e32 v38, v9
	v_lshlrev_b32_e32 v5, 3, v5
	v_lshlrev_b32_e32 v9, 3, v17
	v_add3_u32 v17, 0, v9, v5
	s_mov_b32 s2, s13
	s_waitcnt vmcnt(2)
	v_pk_mul_f32 v[32:33], v[32:33], v[2:3] op_sel_hi:[0,1]
	s_waitcnt vmcnt(1)
	v_pk_mul_f32 v[36:37], v[36:37], v[22:23] op_sel_hi:[0,1]
	v_pk_mul_f32 v[40:41], v[40:41], v[20:21] op_sel_hi:[0,1]
	s_waitcnt vmcnt(0)
	v_pk_mul_f32 v[42:43], v[42:43], v[30:31] op_sel_hi:[0,1]
	v_pk_mul_f32 v[38:39], v[38:39], v[0:1] op_sel_hi:[0,1]
	v_pk_fma_f32 v[44:45], v[4:5], v[2:3], v[32:33] op_sel:[0,0,1] op_sel_hi:[1,1,0]
	v_pk_fma_f32 v[2:3], v[4:5], v[2:3], v[32:33] op_sel:[0,0,1] op_sel_hi:[0,1,0] neg_lo:[1,0,0] neg_hi:[1,0,0]
	v_pk_fma_f32 v[4:5], v[14:15], v[22:23], v[36:37] op_sel:[0,0,1] op_sel_hi:[1,1,0]
	v_pk_fma_f32 v[14:15], v[14:15], v[22:23], v[36:37] op_sel:[0,0,1] op_sel_hi:[0,1,0] neg_lo:[1,0,0] neg_hi:[1,0,0]
	;; [unrolled: 2-line block ×5, first 2 shown]
	v_mov_b32_e32 v23, v11
	v_mov_b32_e32 v21, v13
	;; [unrolled: 1-line block ×5, first 2 shown]
	v_pk_add_f32 v[2:3], v[22:23], v[20:21]
	v_mov_b32_e32 v0, v30
	v_pk_add_f32 v[8:9], v[22:23], v[20:21] neg_lo:[0,1] neg_hi:[0,1]
	v_pk_add_f32 v[10:11], v[6:7], v[44:45]
	v_pk_add_f32 v[12:13], v[30:31], v[22:23]
	;; [unrolled: 1-line block ×3, first 2 shown]
	v_pk_add_f32 v[22:23], v[44:45], v[4:5] neg_lo:[0,1] neg_hi:[0,1]
	v_fmac_f32_e32 v1, -0.5, v3
	v_fmac_f32_e32 v0, -0.5, v2
	v_pk_add_f32 v[2:3], v[10:11], v[4:5]
	v_pk_fma_f32 v[6:7], -0.5, v[14:15], v[6:7] op_sel_hi:[0,1,1]
	v_pk_mul_f32 v[10:11], v[22:23], s[2:3] op_sel_hi:[1,0]
	v_fmamk_f32 v14, v8, 0xbf5db3d7, v1
	v_fmac_f32_e32 v1, 0x3f5db3d7, v8
	v_pk_add_f32 v[4:5], v[12:13], v[20:21]
	v_pk_add_f32 v[20:21], v[6:7], v[10:11] op_sel:[0,1] op_sel_hi:[1,0] neg_lo:[0,1] neg_hi:[0,1]
	v_pk_add_f32 v[6:7], v[6:7], v[10:11] op_sel:[0,1] op_sel_hi:[1,0]
	v_mov_b32_e32 v10, v1
	v_fmamk_f32 v12, v9, 0x3f5db3d7, v0
	v_fmac_f32_e32 v0, 0xbf5db3d7, v9
	v_pk_mul_f32 v[14:15], v[14:15], s[14:15] op_sel_hi:[0,1]
	v_pk_mul_f32 v[10:11], v[10:11], s[14:15] op_sel_hi:[0,1]
	v_pk_fma_f32 v[12:13], v[12:13], s[10:11], v[14:15] op_sel_hi:[0,1,1] neg_lo:[0,0,1] neg_hi:[0,0,1]
	v_pk_fma_f32 v[14:15], v[0:1], s[12:13], v[10:11] neg_lo:[0,0,1] neg_hi:[0,0,1]
	v_pk_fma_f32 v[0:1], v[0:1], s[12:13], v[10:11] op_sel_hi:[0,1,1]
	v_pk_add_f32 v[8:9], v[2:3], v[4:5]
	v_pk_add_f32 v[2:3], v[2:3], v[4:5] neg_lo:[0,1] neg_hi:[0,1]
	v_mov_b32_e32 v4, v20
	v_mov_b32_e32 v5, v7
	;; [unrolled: 1-line block ×4, first 2 shown]
	v_pk_add_f32 v[10:11], v[6:7], v[12:13]
	v_pk_add_f32 v[0:1], v[4:5], v[14:15]
	v_pk_add_f32 v[6:7], v[6:7], v[12:13] neg_lo:[0,1] neg_hi:[0,1]
	ds_write2_b64 v17, v[10:11], v[2:3] offset0:52 offset1:78
	v_pk_add_f32 v[2:3], v[4:5], v[14:15] neg_lo:[0,1] neg_hi:[0,1]
	ds_write2_b64 v17, v[8:9], v[0:1] offset1:26
	ds_write2_b64 v17, v[2:3], v[6:7] offset0:104 offset1:130
.LBB0_23:
	s_or_b64 exec, exec, s[16:17]
	v_mul_u32_u24_e32 v0, 10, v28
	v_lshlrev_b32_e32 v0, 3, v0
	s_waitcnt lgkmcnt(0)
	s_barrier
	global_load_dwordx4 v[4:7], v0, s[8:9] offset:1144
	global_load_dwordx4 v[8:11], v0, s[8:9] offset:1160
	;; [unrolled: 1-line block ×5, first 2 shown]
	ds_read2_b64 v[0:3], v120 offset1:156
	ds_read_b64 v[48:49], v34
	v_add_u32_e32 v17, 0x1200, v120
	ds_read_b64 v[50:51], v35
	ds_read_b64 v[52:53], v120 offset:12480
	v_add_u32_e32 v19, 0x1c00, v120
	v_add_u32_e32 v29, 0x2400, v120
	ds_read2_b64 v[36:39], v17 offset0:48 offset1:204
	ds_read2_b64 v[40:43], v19 offset0:40 offset1:196
	;; [unrolled: 1-line block ×3, first 2 shown]
	s_waitcnt lgkmcnt(4)
	v_mov_b32_e32 v54, v51
	s_mov_b32 s12, 0xbf0a6770
	s_mov_b32 s2, 0x3f575c64
	s_mov_b32 s22, 0xbf68dda4
	s_mov_b32 s10, 0x3ed4b147
	s_mov_b32 s16, 0xbf7d64f0
	s_mov_b32 s14, 0xbe11bafb
	s_mov_b32 s20, 0xbf4178ce
	s_mov_b32 s18, 0xbf27a4f4
	s_mov_b32 s26, 0xbe903f40
	s_mov_b32 s24, 0xbf75a155
	s_waitcnt lgkmcnt(0)
	s_barrier
	s_mov_b32 s28, 0x3f7d64f0
	s_mov_b32 s30, 0x3f0a6770
	s_add_u32 s8, s8, 0x3538
	s_addc_u32 s9, s9, 0
	s_waitcnt vmcnt(4)
	v_mov_b32_e32 v56, v7
	v_mov_b32_e32 v57, v6
	v_pk_mul_f32 v[6:7], v[6:7], v[50:51] op_sel_hi:[1,0]
	s_waitcnt vmcnt(3)
	v_pk_mul_f32 v[58:59], v[8:9], v[48:49] op_sel:[0,1]
	v_pk_mul_f32 v[60:61], v[10:11], v[36:37] op_sel:[0,1]
	;; [unrolled: 1-line block ×3, first 2 shown]
	v_pk_fma_f32 v[54:55], v[56:57], v[54:55], v[6:7]
	v_pk_fma_f32 v[6:7], v[56:57], v[50:51], v[6:7] op_sel:[0,1,0] neg_lo:[0,0,1] neg_hi:[0,0,1]
	v_pk_fma_f32 v[50:51], v[8:9], v[48:49], v[58:59] op_sel:[0,0,1] op_sel_hi:[1,1,0]
	v_pk_fma_f32 v[8:9], v[8:9], v[48:49], v[58:59] op_sel:[0,0,1] op_sel_hi:[1,0,0] neg_lo:[1,0,0] neg_hi:[1,0,0]
	v_pk_fma_f32 v[48:49], v[10:11], v[36:37], v[60:61] op_sel:[0,0,1] op_sel_hi:[1,1,0]
	v_pk_fma_f32 v[10:11], v[10:11], v[36:37], v[60:61] op_sel:[0,0,1] op_sel_hi:[1,0,0] neg_lo:[1,0,0] neg_hi:[1,0,0]
	;; [unrolled: 2-line block ×3, first 2 shown]
	s_waitcnt vmcnt(2)
	v_pk_mul_f32 v[62:63], v[12:13], v[38:39] op_sel:[0,1]
	v_mov_b32_e32 v61, v3
	v_mov_b32_e32 v64, v15
	s_waitcnt vmcnt(0)
	v_pk_mul_f32 v[70:71], v[46:47], v[30:31] op_sel:[0,1]
	v_mov_b32_e32 v72, v33
	v_mov_b32_e32 v55, v7
	v_pk_add_f32 v[2:3], v[60:61], v[0:1]
	v_pk_fma_f32 v[36:37], v[12:13], v[38:39], v[62:63] op_sel:[0,0,1] op_sel_hi:[1,1,0]
	v_pk_fma_f32 v[12:13], v[12:13], v[38:39], v[62:63] op_sel:[0,0,1] op_sel_hi:[1,0,0] neg_lo:[1,0,0] neg_hi:[1,0,0]
	v_pk_mul_f32 v[38:39], v[40:41], v[64:65] op_sel_hi:[1,0]
	v_pk_fma_f32 v[58:59], v[46:47], v[30:31], v[70:71] op_sel:[0,0,1] op_sel_hi:[1,1,0]
	v_pk_fma_f32 v[30:31], v[46:47], v[30:31], v[70:71] op_sel:[0,0,1] op_sel_hi:[1,0,0] neg_lo:[0,0,1] neg_hi:[0,0,1]
	v_pk_mul_f32 v[46:47], v[52:53], v[72:73] op_sel_hi:[1,0]
	v_mov_b32_e32 v51, v9
	v_pk_add_f32 v[2:3], v[2:3], v[54:55]
	v_pk_mul_f32 v[66:67], v[42:43], v[20:21] op_sel:[0,1]
	v_mov_b32_e32 v68, v23
	v_mov_b32_e32 v49, v11
	v_mov_b32_e32 v37, v13
	v_pk_fma_f32 v[4:5], v[40:41], v[14:15], v[38:39] op_sel:[0,0,1] op_sel_hi:[1,1,0]
	v_pk_fma_f32 v[6:7], v[40:41], v[14:15], v[38:39] op_sel:[0,0,1] op_sel_hi:[1,0,0] neg_lo:[0,0,1] neg_hi:[0,0,1]
	v_pk_fma_f32 v[12:13], v[52:53], v[32:33], v[46:47] op_sel:[0,0,1] op_sel_hi:[1,1,0]
	v_pk_fma_f32 v[14:15], v[52:53], v[32:33], v[46:47] op_sel:[0,0,1] op_sel_hi:[1,0,0] neg_lo:[0,0,1] neg_hi:[0,0,1]
	v_pk_add_f32 v[2:3], v[2:3], v[50:51]
	v_pk_fma_f32 v[56:57], v[42:43], v[20:21], v[66:67] op_sel:[0,0,1] op_sel_hi:[1,1,0]
	v_pk_fma_f32 v[20:21], v[42:43], v[20:21], v[66:67] op_sel:[0,0,1] op_sel_hi:[1,0,0] neg_lo:[0,0,1] neg_hi:[0,0,1]
	v_pk_mul_f32 v[42:43], v[44:45], v[68:69] op_sel_hi:[1,0]
	v_mov_b32_e32 v13, v15
	v_pk_add_f32 v[2:3], v[2:3], v[48:49]
	v_mov_b32_e32 v57, v21
	v_pk_fma_f32 v[8:9], v[44:45], v[22:23], v[42:43] op_sel:[0,0,1] op_sel_hi:[1,1,0]
	v_pk_fma_f32 v[10:11], v[44:45], v[22:23], v[42:43] op_sel:[0,0,1] op_sel_hi:[1,0,0] neg_lo:[0,0,1] neg_hi:[0,0,1]
	v_mov_b32_e32 v59, v31
	v_mov_b32_e32 v5, v7
	v_pk_add_f32 v[20:21], v[60:61], v[12:13] neg_lo:[0,1] neg_hi:[0,1]
	v_pk_add_f32 v[2:3], v[2:3], v[36:37]
	v_mov_b32_e32 v9, v11
	v_pk_add_f32 v[10:11], v[54:55], v[58:59] neg_lo:[0,1] neg_hi:[0,1]
	v_pk_add_f32 v[14:15], v[60:61], v[12:13]
	v_pk_mul_f32 v[30:31], v[20:21], s[12:13] op_sel_hi:[1,0]
	v_pk_add_f32 v[2:3], v[2:3], v[4:5]
	v_pk_add_f32 v[6:7], v[54:55], v[58:59]
	v_pk_mul_f32 v[22:23], v[10:11], s[22:23] op_sel_hi:[1,0]
	v_pk_fma_f32 v[38:39], v[14:15], s[2:3], v[30:31] op_sel:[0,0,1] op_sel_hi:[1,0,0]
	v_pk_fma_f32 v[30:31], v[14:15], s[2:3], v[30:31] op_sel:[0,0,1] op_sel_hi:[1,0,0] neg_lo:[0,0,1] neg_hi:[0,0,1]
	v_pk_add_f32 v[2:3], v[2:3], v[56:57]
	v_pk_fma_f32 v[32:33], v[6:7], s[10:11], v[22:23] op_sel:[0,0,1] op_sel_hi:[1,0,0]
	v_pk_fma_f32 v[22:23], v[6:7], s[10:11], v[22:23] op_sel:[0,0,1] op_sel_hi:[1,0,0] neg_lo:[0,0,1] neg_hi:[0,0,1]
	v_mov_b32_e32 v42, v38
	v_mov_b32_e32 v43, v31
	v_pk_add_f32 v[2:3], v[2:3], v[8:9]
	v_mov_b32_e32 v40, v32
	v_mov_b32_e32 v41, v23
	v_pk_add_f32 v[42:43], v[42:43], v[0:1]
	v_pk_add_f32 v[2:3], v[2:3], v[58:59]
	v_pk_mul_f32 v[60:61], v[10:11], s[20:21] op_sel_hi:[1,0]
	v_pk_add_f32 v[2:3], v[2:3], v[12:13]
	v_pk_add_f32 v[12:13], v[40:41], v[42:43]
	;; [unrolled: 1-line block ×3, first 2 shown]
	v_pk_add_f32 v[8:9], v[50:51], v[8:9] neg_lo:[0,1] neg_hi:[0,1]
	v_pk_fma_f32 v[62:63], v[6:7], s[18:19], v[60:61] op_sel:[0,0,1] op_sel_hi:[1,0,0]
	v_pk_mul_f32 v[42:43], v[8:9], s[16:17] op_sel_hi:[1,0]
	v_pk_fma_f32 v[60:61], v[6:7], s[18:19], v[60:61] op_sel:[0,0,1] op_sel_hi:[1,0,0] neg_lo:[0,0,1] neg_hi:[0,0,1]
	v_pk_fma_f32 v[44:45], v[40:41], s[14:15], v[42:43] op_sel:[0,0,1] op_sel_hi:[1,0,0]
	v_pk_fma_f32 v[42:43], v[40:41], s[14:15], v[42:43] op_sel:[0,0,1] op_sel_hi:[1,0,0] neg_lo:[0,0,1] neg_hi:[0,0,1]
	v_mov_b32_e32 v46, v44
	v_mov_b32_e32 v47, v43
	v_pk_add_f32 v[12:13], v[46:47], v[12:13]
	v_pk_add_f32 v[46:47], v[48:49], v[56:57]
	v_pk_add_f32 v[48:49], v[48:49], v[56:57] neg_lo:[0,1] neg_hi:[0,1]
	v_mov_b32_e32 v64, v62
	v_pk_mul_f32 v[50:51], v[48:49], s[20:21] op_sel_hi:[1,0]
	v_mov_b32_e32 v65, v61
	v_pk_fma_f32 v[52:53], v[46:47], s[18:19], v[50:51] op_sel:[0,0,1] op_sel_hi:[1,0,0]
	v_pk_fma_f32 v[50:51], v[46:47], s[18:19], v[50:51] op_sel:[0,0,1] op_sel_hi:[1,0,0] neg_lo:[0,0,1] neg_hi:[0,0,1]
	v_mov_b32_e32 v54, v52
	v_mov_b32_e32 v55, v51
	v_pk_add_f32 v[12:13], v[54:55], v[12:13]
	v_pk_add_f32 v[54:55], v[36:37], v[4:5]
	v_pk_add_f32 v[4:5], v[36:37], v[4:5] neg_lo:[0,1] neg_hi:[0,1]
	v_pk_mul_f32 v[100:101], v[10:11], s[28:29] op_sel_hi:[1,0]
	v_pk_mul_f32 v[36:37], v[4:5], s[26:27] op_sel_hi:[1,0]
	v_pk_fma_f32 v[102:103], v[6:7], s[14:15], v[100:101] op_sel:[0,0,1] op_sel_hi:[1,0,0]
	v_pk_fma_f32 v[56:57], v[54:55], s[24:25], v[36:37] op_sel:[0,0,1] op_sel_hi:[1,0,0]
	v_pk_fma_f32 v[36:37], v[54:55], s[24:25], v[36:37] op_sel:[0,0,1] op_sel_hi:[1,0,0] neg_lo:[0,0,1] neg_hi:[0,0,1]
	v_mov_b32_e32 v58, v56
	v_mov_b32_e32 v59, v37
	v_pk_add_f32 v[12:13], v[58:59], v[12:13]
	ds_write2_b64 v120, v[2:3], v[12:13] offset1:156
	v_pk_mul_f32 v[2:3], v[20:21], s[22:23] op_sel_hi:[1,0]
	s_mov_b32 s22, 0x3e903f40
	v_pk_fma_f32 v[12:13], v[14:15], s[10:11], v[2:3] op_sel:[0,0,1] op_sel_hi:[1,0,0]
	v_pk_fma_f32 v[2:3], v[14:15], s[10:11], v[2:3] op_sel:[0,0,1] op_sel_hi:[1,0,0] neg_lo:[0,0,1] neg_hi:[0,0,1]
	v_mov_b32_e32 v58, v12
	v_mov_b32_e32 v59, v3
	v_pk_add_f32 v[58:59], v[58:59], v[0:1]
	v_pk_mul_f32 v[82:83], v[10:11], s[22:23] op_sel_hi:[1,0]
	v_pk_add_f32 v[58:59], v[64:65], v[58:59]
	v_pk_mul_f32 v[64:65], v[8:9], s[22:23] op_sel_hi:[1,0]
	v_pk_fma_f32 v[84:85], v[6:7], s[24:25], v[82:83] op_sel:[0,0,1] op_sel_hi:[1,0,0]
	v_pk_fma_f32 v[66:67], v[40:41], s[24:25], v[64:65] op_sel:[0,0,1] op_sel_hi:[1,0,0]
	v_pk_fma_f32 v[64:65], v[40:41], s[24:25], v[64:65] op_sel:[0,0,1] op_sel_hi:[1,0,0] neg_lo:[0,0,1] neg_hi:[0,0,1]
	v_mov_b32_e32 v68, v66
	v_mov_b32_e32 v69, v65
	v_pk_add_f32 v[58:59], v[68:69], v[58:59]
	v_pk_mul_f32 v[68:69], v[48:49], s[28:29] op_sel_hi:[1,0]
	v_pk_fma_f32 v[82:83], v[6:7], s[24:25], v[82:83] op_sel:[0,0,1] op_sel_hi:[1,0,0] neg_lo:[0,0,1] neg_hi:[0,0,1]
	v_pk_fma_f32 v[70:71], v[46:47], s[14:15], v[68:69] op_sel:[0,0,1] op_sel_hi:[1,0,0]
	v_pk_fma_f32 v[68:69], v[46:47], s[14:15], v[68:69] op_sel:[0,0,1] op_sel_hi:[1,0,0] neg_lo:[0,0,1] neg_hi:[0,0,1]
	v_mov_b32_e32 v72, v70
	v_mov_b32_e32 v73, v69
	v_pk_add_f32 v[58:59], v[72:73], v[58:59]
	v_pk_mul_f32 v[72:73], v[4:5], s[30:31] op_sel_hi:[1,0]
	v_mov_b32_e32 v86, v84
	v_pk_fma_f32 v[74:75], v[54:55], s[2:3], v[72:73] op_sel:[0,0,1] op_sel_hi:[1,0,0]
	v_pk_fma_f32 v[72:73], v[54:55], s[2:3], v[72:73] op_sel:[0,0,1] op_sel_hi:[1,0,0] neg_lo:[0,0,1] neg_hi:[0,0,1]
	v_mov_b32_e32 v76, v74
	v_mov_b32_e32 v77, v73
	v_pk_add_f32 v[58:59], v[76:77], v[58:59]
	v_pk_mul_f32 v[76:77], v[20:21], s[16:17] op_sel_hi:[1,0]
	v_mov_b32_e32 v87, v83
	v_pk_fma_f32 v[78:79], v[14:15], s[14:15], v[76:77] op_sel:[0,0,1] op_sel_hi:[1,0,0]
	v_pk_fma_f32 v[76:77], v[14:15], s[14:15], v[76:77] op_sel:[0,0,1] op_sel_hi:[1,0,0] neg_lo:[0,0,1] neg_hi:[0,0,1]
	v_mov_b32_e32 v80, v78
	v_mov_b32_e32 v81, v77
	v_pk_add_f32 v[80:81], v[80:81], v[0:1]
	s_mov_b32 s22, 0x3f68dda4
	v_pk_add_f32 v[80:81], v[86:87], v[80:81]
	v_pk_mul_f32 v[86:87], v[8:9], s[22:23] op_sel_hi:[1,0]
	v_add_u32_e32 v3, 0x800, v120
	v_pk_fma_f32 v[88:89], v[40:41], s[10:11], v[86:87] op_sel:[0,0,1] op_sel_hi:[1,0,0]
	v_pk_fma_f32 v[86:87], v[40:41], s[10:11], v[86:87] op_sel:[0,0,1] op_sel_hi:[1,0,0] neg_lo:[0,0,1] neg_hi:[0,0,1]
	v_mov_b32_e32 v90, v88
	v_mov_b32_e32 v91, v87
	v_pk_add_f32 v[80:81], v[90:91], v[80:81]
	v_pk_mul_f32 v[90:91], v[48:49], s[12:13] op_sel_hi:[1,0]
	v_pk_fma_f32 v[100:101], v[6:7], s[14:15], v[100:101] op_sel:[0,0,1] op_sel_hi:[1,0,0] neg_lo:[0,0,1] neg_hi:[0,0,1]
	v_pk_fma_f32 v[92:93], v[46:47], s[2:3], v[90:91] op_sel:[0,0,1] op_sel_hi:[1,0,0]
	v_pk_fma_f32 v[90:91], v[46:47], s[2:3], v[90:91] op_sel:[0,0,1] op_sel_hi:[1,0,0] neg_lo:[0,0,1] neg_hi:[0,0,1]
	v_mov_b32_e32 v94, v92
	v_mov_b32_e32 v95, v91
	v_pk_add_f32 v[80:81], v[94:95], v[80:81]
	v_pk_mul_f32 v[94:95], v[4:5], s[20:21] op_sel_hi:[1,0]
	v_mov_b32_e32 v104, v102
	v_pk_fma_f32 v[96:97], v[54:55], s[18:19], v[94:95] op_sel:[0,0,1] op_sel_hi:[1,0,0]
	v_pk_fma_f32 v[94:95], v[54:55], s[18:19], v[94:95] op_sel:[0,0,1] op_sel_hi:[1,0,0] neg_lo:[0,0,1] neg_hi:[0,0,1]
	v_mov_b32_e32 v98, v96
	v_mov_b32_e32 v99, v95
	v_pk_add_f32 v[80:81], v[98:99], v[80:81]
	ds_write2_b64 v3, v[58:59], v[80:81] offset0:56 offset1:212
	v_pk_mul_f32 v[58:59], v[20:21], s[20:21] op_sel_hi:[1,0]
	v_mov_b32_e32 v105, v101
	v_pk_fma_f32 v[80:81], v[14:15], s[18:19], v[58:59] op_sel:[0,0,1] op_sel_hi:[1,0,0]
	v_pk_fma_f32 v[58:59], v[14:15], s[18:19], v[58:59] op_sel:[0,0,1] op_sel_hi:[1,0,0] neg_lo:[0,0,1] neg_hi:[0,0,1]
	v_mov_b32_e32 v98, v80
	v_mov_b32_e32 v99, v59
	v_pk_add_f32 v[98:99], v[98:99], v[0:1]
	v_pk_mul_f32 v[20:21], v[20:21], s[26:27] op_sel_hi:[1,0]
	v_pk_add_f32 v[98:99], v[104:105], v[98:99]
	v_pk_mul_f32 v[104:105], v[8:9], s[12:13] op_sel_hi:[1,0]
	v_pk_mul_f32 v[10:11], v[10:11], s[30:31] op_sel_hi:[1,0]
	v_pk_fma_f32 v[106:107], v[40:41], s[2:3], v[104:105] op_sel:[0,0,1] op_sel_hi:[1,0,0]
	v_pk_fma_f32 v[104:105], v[40:41], s[2:3], v[104:105] op_sel:[0,0,1] op_sel_hi:[1,0,0] neg_lo:[0,0,1] neg_hi:[0,0,1]
	v_mov_b32_e32 v108, v106
	v_mov_b32_e32 v109, v105
	v_pk_add_f32 v[98:99], v[108:109], v[98:99]
	v_pk_mul_f32 v[108:109], v[48:49], s[26:27] op_sel_hi:[1,0]
	v_pk_fma_f32 v[118:119], v[6:7], s[2:3], v[10:11] op_sel:[0,0,1] op_sel_hi:[1,0,0]
	v_pk_fma_f32 v[110:111], v[46:47], s[24:25], v[108:109] op_sel:[0,0,1] op_sel_hi:[1,0,0]
	v_pk_fma_f32 v[108:109], v[46:47], s[24:25], v[108:109] op_sel:[0,0,1] op_sel_hi:[1,0,0] neg_lo:[0,0,1] neg_hi:[0,0,1]
	v_mov_b32_e32 v112, v110
	v_mov_b32_e32 v113, v109
	v_pk_add_f32 v[98:99], v[112:113], v[98:99]
	v_pk_mul_f32 v[112:113], v[4:5], s[22:23] op_sel_hi:[1,0]
	v_pk_fma_f32 v[6:7], v[6:7], s[2:3], v[10:11] op_sel:[0,0,1] op_sel_hi:[1,0,0] neg_lo:[0,0,1] neg_hi:[0,0,1]
	v_pk_fma_f32 v[114:115], v[54:55], s[10:11], v[112:113] op_sel:[0,0,1] op_sel_hi:[1,0,0]
	v_pk_fma_f32 v[112:113], v[54:55], s[10:11], v[112:113] op_sel:[0,0,1] op_sel_hi:[1,0,0] neg_lo:[0,0,1] neg_hi:[0,0,1]
	v_mov_b32_e32 v116, v114
	v_mov_b32_e32 v117, v113
	v_pk_add_f32 v[98:99], v[116:117], v[98:99]
	v_pk_fma_f32 v[116:117], v[14:15], s[24:25], v[20:21] op_sel:[0,0,1] op_sel_hi:[1,0,0]
	v_pk_fma_f32 v[14:15], v[14:15], s[24:25], v[20:21] op_sel:[0,0,1] op_sel_hi:[1,0,0] neg_lo:[0,0,1] neg_hi:[0,0,1]
	v_mov_b32_e32 v20, v116
	v_mov_b32_e32 v21, v15
	v_pk_add_f32 v[20:21], v[20:21], v[0:1]
	v_mov_b32_e32 v10, v118
	v_mov_b32_e32 v11, v7
	v_pk_mul_f32 v[8:9], v[8:9], s[20:21] op_sel_hi:[1,0]
	v_pk_add_f32 v[10:11], v[10:11], v[20:21]
	v_pk_fma_f32 v[20:21], v[40:41], s[18:19], v[8:9] op_sel:[0,0,1] op_sel_hi:[1,0,0]
	v_pk_fma_f32 v[8:9], v[40:41], s[18:19], v[8:9] op_sel:[0,0,1] op_sel_hi:[1,0,0] neg_lo:[0,0,1] neg_hi:[0,0,1]
	v_mov_b32_e32 v40, v20
	v_mov_b32_e32 v41, v9
	v_pk_add_f32 v[10:11], v[40:41], v[10:11]
	v_pk_mul_f32 v[40:41], v[48:49], s[22:23] op_sel_hi:[1,0]
	v_pk_mul_f32 v[4:5], v[4:5], s[16:17] op_sel_hi:[1,0]
	v_pk_fma_f32 v[48:49], v[46:47], s[10:11], v[40:41] op_sel:[0,0,1] op_sel_hi:[1,0,0]
	v_pk_fma_f32 v[40:41], v[46:47], s[10:11], v[40:41] op_sel:[0,0,1] op_sel_hi:[1,0,0] neg_lo:[0,0,1] neg_hi:[0,0,1]
	v_mov_b32_e32 v46, v48
	v_mov_b32_e32 v47, v41
	v_pk_add_f32 v[10:11], v[46:47], v[10:11]
	v_pk_fma_f32 v[46:47], v[54:55], s[14:15], v[4:5] op_sel:[0,0,1] op_sel_hi:[1,0,0]
	v_pk_fma_f32 v[4:5], v[54:55], s[14:15], v[4:5] op_sel:[0,0,1] op_sel_hi:[1,0,0] neg_lo:[0,0,1] neg_hi:[0,0,1]
	v_mov_b32_e32 v54, v46
	v_mov_b32_e32 v55, v5
	v_pk_add_f32 v[10:11], v[54:55], v[10:11]
	v_mov_b32_e32 v15, v117
	ds_write2_b64 v17, v[98:99], v[10:11] offset0:48 offset1:204
	v_pk_add_f32 v[10:11], v[14:15], v[0:1]
	v_mov_b32_e32 v7, v119
	v_pk_add_f32 v[6:7], v[6:7], v[10:11]
	v_mov_b32_e32 v9, v21
	;; [unrolled: 2-line block ×4, first 2 shown]
	v_mov_b32_e32 v59, v81
	v_pk_add_f32 v[4:5], v[4:5], v[6:7]
	v_pk_add_f32 v[6:7], v[58:59], v[0:1]
	v_mov_b32_e32 v101, v103
	v_pk_add_f32 v[6:7], v[100:101], v[6:7]
	v_mov_b32_e32 v105, v107
	;; [unrolled: 2-line block ×5, first 2 shown]
	v_mov_b32_e32 v3, v13
	v_mov_b32_e32 v31, v39
	ds_write2_b64 v19, v[4:5], v[6:7] offset0:40 offset1:196
	v_pk_add_f32 v[4:5], v[76:77], v[0:1]
	v_mov_b32_e32 v83, v85
	v_pk_add_f32 v[2:3], v[2:3], v[0:1]
	v_mov_b32_e32 v61, v63
	v_pk_add_f32 v[0:1], v[30:31], v[0:1]
	v_mov_b32_e32 v23, v33
	v_pk_add_f32 v[4:5], v[82:83], v[4:5]
	v_mov_b32_e32 v87, v89
	v_pk_add_f32 v[2:3], v[60:61], v[2:3]
	v_mov_b32_e32 v65, v67
	v_pk_add_f32 v[0:1], v[22:23], v[0:1]
	v_mov_b32_e32 v43, v45
	v_pk_add_f32 v[4:5], v[86:87], v[4:5]
	v_mov_b32_e32 v91, v93
	v_pk_add_f32 v[2:3], v[64:65], v[2:3]
	v_mov_b32_e32 v69, v71
	v_pk_add_f32 v[0:1], v[42:43], v[0:1]
	v_mov_b32_e32 v51, v53
	v_pk_add_f32 v[4:5], v[90:91], v[4:5]
	v_mov_b32_e32 v95, v97
	v_pk_add_f32 v[2:3], v[68:69], v[2:3]
	v_mov_b32_e32 v73, v75
	v_pk_add_f32 v[0:1], v[50:51], v[0:1]
	v_mov_b32_e32 v37, v57
	v_pk_add_f32 v[4:5], v[94:95], v[4:5]
	v_pk_add_f32 v[2:3], v[72:73], v[2:3]
	;; [unrolled: 1-line block ×3, first 2 shown]
	ds_write2_b64 v29, v[4:5], v[2:3] offset0:96 offset1:252
	ds_write_b64 v120, v[0:1] offset:12480
	s_waitcnt lgkmcnt(0)
	s_barrier
	ds_read_b64 v[0:1], v120
	v_lshlrev_b32_e32 v2, 3, v28
	v_sub_u32_e32 v8, 0, v2
	v_cmp_ne_u32_e64 s[2:3], 0, v28
                                        ; implicit-def: $vgpr4_vgpr5
                                        ; implicit-def: $vgpr3
                                        ; implicit-def: $vgpr6_vgpr7
	s_and_saveexec_b64 s[10:11], s[2:3]
	s_xor_b64 s[2:3], exec, s[10:11]
	s_cbranch_execz .LBB0_25
; %bb.24:
	v_mov_b32_e32 v29, 0
	v_lshl_add_u64 v[2:3], v[28:29], 3, s[8:9]
	global_load_dwordx2 v[4:5], v[2:3], off
	ds_read_b64 v[2:3], v8 offset:13728
	v_mov_b32_e32 v7, 0.5
	v_mov_b32_e32 v10, v7
	s_waitcnt lgkmcnt(0)
	v_pk_add_f32 v[12:13], v[2:3], v[0:1]
	v_pk_add_f32 v[0:1], v[0:1], v[2:3] neg_lo:[0,1] neg_hi:[0,1]
	v_mov_b32_e32 v2, v13
	v_mov_b32_e32 v3, v0
	v_pk_mul_f32 v[14:15], v[2:3], 0.5 op_sel_hi:[1,0]
	s_waitcnt vmcnt(0)
	v_mov_b32_e32 v6, v5
	v_mov_b32_e32 v0, v15
	v_mov_b32_e32 v13, v14
	v_mov_b32_e32 v11, v5
	v_pk_mul_f32 v[0:1], v[6:7], v[0:1]
	v_pk_mul_f32 v[2:3], v[4:5], v[14:15] op_sel_hi:[0,1]
	v_pk_fma_f32 v[6:7], v[12:13], v[10:11], v[0:1]
	v_pk_fma_f32 v[0:1], v[12:13], v[10:11], v[0:1] neg_lo:[0,0,1] neg_hi:[0,0,1]
	v_add_f32_e32 v2, v2, v6
	v_sub_f32_e32 v3, v7, v3
	v_pk_fma_f32 v[4:5], v[4:5], v[14:15], v[0:1] op_sel_hi:[0,1,1] neg_lo:[1,0,0] neg_hi:[1,0,0]
	ds_write_b32 v120, v2
	v_mov_b64_e32 v[6:7], v[28:29]
                                        ; implicit-def: $vgpr0_vgpr1
.LBB0_25:
	s_andn2_saveexec_b64 s[2:3], s[2:3]
	s_cbranch_execz .LBB0_27
; %bb.26:
	s_waitcnt lgkmcnt(0)
	v_mov_b32_e32 v2, v1
	v_pk_add_f32 v[2:3], v[0:1], v[2:3] neg_lo:[0,1] neg_hi:[0,1]
	v_add_f32_e32 v0, v1, v0
	v_mov_b32_e32 v3, 0
	ds_read_b32 v4, v3 offset:6868
	v_mov_b64_e32 v[6:7], 0
	ds_write_b32 v120, v0
	s_waitcnt lgkmcnt(1)
	v_xor_b32_e32 v0, 0x80000000, v4
	v_mov_b64_e32 v[4:5], v[2:3]
	ds_write_b32 v3, v0 offset:6868
.LBB0_27:
	s_or_b64 exec, exec, s[2:3]
	s_waitcnt lgkmcnt(0)
	v_lshl_add_u64 v[0:1], v[6:7], 3, s[8:9]
	global_load_dwordx2 v[6:7], v[0:1], off offset:1248
	v_mov_b32_e32 v19, 0
	v_lshl_add_u64 v[10:11], v[18:19], 3, s[8:9]
	global_load_dwordx2 v[10:11], v[10:11], off
	v_mov_b32_e32 v17, v19
	v_lshl_add_u64 v[12:13], v[16:17], 3, s[8:9]
	global_load_dwordx2 v[12:13], v[12:13], off
	s_movk_i32 s2, 0x1000
	v_add_co_u32_e64 v14, s[2:3], s2, v0
	s_nop 1
	v_addc_co_u32_e64 v15, s[2:3], 0, v1, s[2:3]
	global_load_dwordx2 v[14:15], v[14:15], off offset:896
	ds_write_b32 v120, v3 offset:4
	ds_write_b64 v8, v[4:5] offset:13728
	ds_read_b64 v[4:5], v120 offset:1248
	ds_read_b64 v[16:17], v8 offset:12480
	v_mov_b32_e32 v3, 0.5
	v_mov_b32_e32 v18, v3
	s_waitcnt lgkmcnt(0)
	v_pk_add_f32 v[20:21], v[4:5], v[16:17]
	v_pk_add_f32 v[4:5], v[4:5], v[16:17] neg_lo:[0,1] neg_hi:[0,1]
	v_mov_b32_e32 v16, v21
	v_mov_b32_e32 v17, v4
	v_pk_mul_f32 v[16:17], v[16:17], 0.5 op_sel_hi:[1,0]
	s_waitcnt vmcnt(3)
	v_mov_b32_e32 v2, v7
	v_mov_b32_e32 v4, v17
	;; [unrolled: 1-line block ×4, first 2 shown]
	v_pk_mul_f32 v[4:5], v[2:3], v[4:5]
	s_waitcnt vmcnt(2)
	v_mov_b32_e32 v2, v11
	v_pk_fma_f32 v[22:23], v[20:21], v[18:19], v[4:5]
	v_pk_fma_f32 v[4:5], v[20:21], v[18:19], v[4:5] neg_lo:[0,0,1] neg_hi:[0,0,1]
	v_pk_fma_f32 v[18:19], v[6:7], v[16:17], v[22:23]
	v_pk_fma_f32 v[20:21], v[6:7], v[16:17], v[22:23] op_sel_hi:[0,1,1] neg_lo:[1,0,0] neg_hi:[1,0,0]
	v_mov_b32_e32 v19, v21
	v_pk_fma_f32 v[4:5], v[6:7], v[16:17], v[4:5] op_sel_hi:[0,1,1] neg_lo:[1,0,0] neg_hi:[1,0,0]
	ds_write_b64 v120, v[18:19] offset:1248
	ds_write_b64 v8, v[4:5] offset:12480
	ds_read_b64 v[4:5], v35
	ds_read_b64 v[6:7], v8 offset:11232
	v_mov_b32_e32 v16, v3
	v_mov_b32_e32 v17, v11
	s_waitcnt lgkmcnt(0)
	v_pk_add_f32 v[18:19], v[4:5], v[6:7]
	v_pk_add_f32 v[4:5], v[4:5], v[6:7] neg_lo:[0,1] neg_hi:[0,1]
	v_mov_b32_e32 v6, v19
	v_mov_b32_e32 v7, v4
	v_pk_mul_f32 v[6:7], v[6:7], 0.5 op_sel_hi:[1,0]
	s_nop 0
	v_mov_b32_e32 v4, v7
	v_mov_b32_e32 v19, v6
	v_pk_mul_f32 v[4:5], v[2:3], v[4:5]
	s_waitcnt vmcnt(1)
	v_mov_b32_e32 v2, v13
	v_pk_fma_f32 v[20:21], v[18:19], v[16:17], v[4:5]
	v_pk_fma_f32 v[4:5], v[18:19], v[16:17], v[4:5] neg_lo:[0,0,1] neg_hi:[0,0,1]
	v_pk_fma_f32 v[16:17], v[10:11], v[6:7], v[20:21]
	v_pk_fma_f32 v[18:19], v[10:11], v[6:7], v[20:21] op_sel_hi:[0,1,1] neg_lo:[1,0,0] neg_hi:[1,0,0]
	v_mov_b32_e32 v17, v19
	v_pk_fma_f32 v[4:5], v[10:11], v[6:7], v[4:5] op_sel_hi:[0,1,1] neg_lo:[1,0,0] neg_hi:[1,0,0]
	ds_write_b64 v35, v[16:17]
	ds_write_b64 v8, v[4:5] offset:11232
	ds_read_b64 v[4:5], v34
	ds_read_b64 v[6:7], v8 offset:9984
	v_mov_b32_e32 v10, v3
	v_mov_b32_e32 v11, v13
	s_waitcnt lgkmcnt(0)
	v_pk_add_f32 v[16:17], v[4:5], v[6:7]
	v_pk_add_f32 v[4:5], v[4:5], v[6:7] neg_lo:[0,1] neg_hi:[0,1]
	v_mov_b32_e32 v6, v17
	v_mov_b32_e32 v7, v4
	v_pk_mul_f32 v[6:7], v[6:7], 0.5 op_sel_hi:[1,0]
	s_nop 0
	v_mov_b32_e32 v4, v7
	v_mov_b32_e32 v17, v6
	v_pk_mul_f32 v[4:5], v[2:3], v[4:5]
	s_waitcnt vmcnt(0)
	v_mov_b32_e32 v2, v15
	v_pk_fma_f32 v[18:19], v[16:17], v[10:11], v[4:5]
	v_pk_fma_f32 v[4:5], v[16:17], v[10:11], v[4:5] neg_lo:[0,0,1] neg_hi:[0,0,1]
	v_pk_fma_f32 v[10:11], v[12:13], v[6:7], v[18:19]
	v_pk_fma_f32 v[16:17], v[12:13], v[6:7], v[18:19] op_sel_hi:[0,1,1] neg_lo:[1,0,0] neg_hi:[1,0,0]
	v_mov_b32_e32 v11, v17
	v_pk_fma_f32 v[4:5], v[12:13], v[6:7], v[4:5] op_sel_hi:[0,1,1] neg_lo:[1,0,0] neg_hi:[1,0,0]
	ds_write_b64 v34, v[10:11]
	ds_write_b64 v8, v[4:5] offset:9984
	ds_read_b64 v[4:5], v120 offset:4992
	ds_read_b64 v[6:7], v8 offset:8736
	v_mov_b32_e32 v10, v3
	v_mov_b32_e32 v11, v15
	s_waitcnt lgkmcnt(0)
	v_pk_add_f32 v[12:13], v[4:5], v[6:7]
	v_pk_add_f32 v[4:5], v[4:5], v[6:7] neg_lo:[0,1] neg_hi:[0,1]
	v_mov_b32_e32 v6, v13
	v_mov_b32_e32 v7, v4
	v_pk_mul_f32 v[6:7], v[6:7], 0.5 op_sel_hi:[1,0]
	s_nop 0
	v_mov_b32_e32 v4, v7
	v_mov_b32_e32 v13, v6
	v_pk_mul_f32 v[4:5], v[2:3], v[4:5]
	s_nop 0
	v_pk_fma_f32 v[16:17], v[12:13], v[10:11], v[4:5]
	v_pk_fma_f32 v[4:5], v[12:13], v[10:11], v[4:5] neg_lo:[0,0,1] neg_hi:[0,0,1]
	v_pk_fma_f32 v[10:11], v[14:15], v[6:7], v[16:17]
	v_pk_fma_f32 v[12:13], v[14:15], v[6:7], v[16:17] op_sel_hi:[0,1,1] neg_lo:[1,0,0] neg_hi:[1,0,0]
	v_mov_b32_e32 v11, v13
	v_pk_fma_f32 v[4:5], v[14:15], v[6:7], v[4:5] op_sel_hi:[0,1,1] neg_lo:[1,0,0] neg_hi:[1,0,0]
	ds_write_b64 v120, v[10:11] offset:4992
	ds_write_b64 v8, v[4:5] offset:8736
	s_and_saveexec_b64 s[2:3], vcc
	s_cbranch_execz .LBB0_29
; %bb.28:
	v_add_co_u32_e32 v0, vcc, 0x1000, v0
	v_mov_b32_e32 v10, v3
	s_nop 0
	v_addc_co_u32_e32 v1, vcc, 0, v1, vcc
	global_load_dwordx2 v[0:1], v[0:1], off offset:2144
	ds_read_b64 v[4:5], v120 offset:6240
	ds_read_b64 v[6:7], v8 offset:7488
	s_waitcnt lgkmcnt(0)
	v_pk_add_f32 v[12:13], v[4:5], v[6:7]
	v_pk_add_f32 v[4:5], v[4:5], v[6:7] neg_lo:[0,1] neg_hi:[0,1]
	v_mov_b32_e32 v6, v13
	v_mov_b32_e32 v7, v4
	v_pk_mul_f32 v[6:7], v[6:7], 0.5 op_sel_hi:[1,0]
	s_waitcnt vmcnt(0)
	v_mov_b32_e32 v2, v1
	v_mov_b32_e32 v4, v7
	;; [unrolled: 1-line block ×4, first 2 shown]
	v_pk_mul_f32 v[2:3], v[2:3], v[4:5]
	s_nop 0
	v_pk_fma_f32 v[4:5], v[12:13], v[10:11], v[2:3]
	v_pk_fma_f32 v[2:3], v[12:13], v[10:11], v[2:3] neg_lo:[0,0,1] neg_hi:[0,0,1]
	v_pk_fma_f32 v[10:11], v[0:1], v[6:7], v[4:5]
	v_pk_fma_f32 v[4:5], v[0:1], v[6:7], v[4:5] op_sel_hi:[0,1,1] neg_lo:[1,0,0] neg_hi:[1,0,0]
	v_mov_b32_e32 v11, v5
	v_pk_fma_f32 v[0:1], v[0:1], v[6:7], v[2:3] op_sel_hi:[0,1,1] neg_lo:[1,0,0] neg_hi:[1,0,0]
	ds_write_b64 v120, v[10:11] offset:6240
	ds_write_b64 v8, v[0:1] offset:7488
.LBB0_29:
	s_or_b64 exec, exec, s[2:3]
	s_waitcnt lgkmcnt(0)
	s_barrier
	s_and_saveexec_b64 s[2:3], s[0:1]
	s_cbranch_execz .LBB0_32
; %bb.30:
	v_mul_lo_u32 v2, s5, v26
	v_mul_lo_u32 v3, s4, v27
	v_mad_u64_u32 v[0:1], s[0:1], s4, v26, 0
	v_lshl_add_u32 v10, v28, 3, 0
	v_add3_u32 v1, v1, v3, v2
	ds_read2_b64 v[2:5], v10 offset1:156
	v_lshl_add_u64 v[0:1], v[0:1], 3, s[6:7]
	v_mov_b32_e32 v29, 0
	v_lshl_add_u64 v[0:1], v[24:25], 3, v[0:1]
	v_lshl_add_u64 v[6:7], v[28:29], 3, v[0:1]
	s_waitcnt lgkmcnt(0)
	global_store_dwordx2 v[6:7], v[2:3], off
	v_add_u32_e32 v6, 0x800, v10
	ds_read2_b64 v[6:9], v6 offset0:56 offset1:212
	v_add_u32_e32 v2, 0x9c, v28
	v_mov_b32_e32 v3, v29
	v_lshl_add_u64 v[2:3], v[2:3], 3, v[0:1]
	global_store_dwordx2 v[2:3], v[4:5], off
	v_add_u32_e32 v2, 0x138, v28
	v_mov_b32_e32 v3, v29
	v_lshl_add_u64 v[2:3], v[2:3], 3, v[0:1]
	s_waitcnt lgkmcnt(0)
	global_store_dwordx2 v[2:3], v[6:7], off
	v_add_u32_e32 v2, 0x1d4, v28
	v_mov_b32_e32 v3, v29
	v_lshl_add_u64 v[6:7], v[2:3], 3, v[0:1]
	v_add_u32_e32 v2, 0x1200, v10
	ds_read2_b64 v[2:5], v2 offset0:48 offset1:204
	global_store_dwordx2 v[6:7], v[8:9], off
	v_add_u32_e32 v6, 0x270, v28
	v_mov_b32_e32 v7, v29
	v_lshl_add_u64 v[6:7], v[6:7], 3, v[0:1]
	s_waitcnt lgkmcnt(0)
	global_store_dwordx2 v[6:7], v[2:3], off
	v_add_u32_e32 v6, 0x1c00, v10
	ds_read2_b64 v[6:9], v6 offset0:40 offset1:196
	v_add_u32_e32 v2, 0x30c, v28
	v_mov_b32_e32 v3, v29
	v_lshl_add_u64 v[2:3], v[2:3], 3, v[0:1]
	global_store_dwordx2 v[2:3], v[4:5], off
	v_add_u32_e32 v2, 0x3a8, v28
	v_mov_b32_e32 v3, v29
	v_lshl_add_u64 v[2:3], v[2:3], 3, v[0:1]
	s_waitcnt lgkmcnt(0)
	global_store_dwordx2 v[2:3], v[6:7], off
	v_add_u32_e32 v2, 0x444, v28
	v_mov_b32_e32 v3, v29
	v_lshl_add_u64 v[6:7], v[2:3], 3, v[0:1]
	v_add_u32_e32 v2, 0x2400, v10
	ds_read2_b64 v[2:5], v2 offset0:96 offset1:252
	global_store_dwordx2 v[6:7], v[8:9], off
	v_add_u32_e32 v6, 0x4e0, v28
	v_mov_b32_e32 v7, v29
	v_lshl_add_u64 v[6:7], v[6:7], 3, v[0:1]
	s_waitcnt lgkmcnt(0)
	global_store_dwordx2 v[6:7], v[2:3], off
	ds_read_b64 v[6:7], v10 offset:12480
	v_add_u32_e32 v2, 0x57c, v28
	v_mov_b32_e32 v3, v29
	v_lshl_add_u64 v[2:3], v[2:3], 3, v[0:1]
	global_store_dwordx2 v[2:3], v[4:5], off
	v_add_u32_e32 v2, 0x618, v28
	v_mov_b32_e32 v3, v29
	s_movk_i32 s0, 0x9b
	v_lshl_add_u64 v[2:3], v[2:3], 3, v[0:1]
	v_cmp_eq_u32_e32 vcc, s0, v28
	s_waitcnt lgkmcnt(0)
	global_store_dwordx2 v[2:3], v[6:7], off
	s_and_b64 exec, exec, vcc
	s_cbranch_execz .LBB0_32
; %bb.31:
	ds_read_b64 v[2:3], v29 offset:13728
	v_add_co_u32_e32 v0, vcc, 0x3000, v0
	s_nop 1
	v_addc_co_u32_e32 v1, vcc, 0, v1, vcc
	s_waitcnt lgkmcnt(0)
	global_store_dwordx2 v[0:1], v[2:3], off offset:1440
.LBB0_32:
	s_endpgm
	.section	.rodata,"a",@progbits
	.p2align	6, 0x0
	.amdhsa_kernel fft_rtc_back_len1716_factors_13_2_6_11_wgs_156_tpt_156_sp_op_CI_CI_unitstride_sbrr_R2C_dirReg
		.amdhsa_group_segment_fixed_size 0
		.amdhsa_private_segment_fixed_size 0
		.amdhsa_kernarg_size 104
		.amdhsa_user_sgpr_count 2
		.amdhsa_user_sgpr_dispatch_ptr 0
		.amdhsa_user_sgpr_queue_ptr 0
		.amdhsa_user_sgpr_kernarg_segment_ptr 1
		.amdhsa_user_sgpr_dispatch_id 0
		.amdhsa_user_sgpr_kernarg_preload_length 0
		.amdhsa_user_sgpr_kernarg_preload_offset 0
		.amdhsa_user_sgpr_private_segment_size 0
		.amdhsa_uses_dynamic_stack 0
		.amdhsa_enable_private_segment 0
		.amdhsa_system_sgpr_workgroup_id_x 1
		.amdhsa_system_sgpr_workgroup_id_y 0
		.amdhsa_system_sgpr_workgroup_id_z 0
		.amdhsa_system_sgpr_workgroup_info 0
		.amdhsa_system_vgpr_workitem_id 0
		.amdhsa_next_free_vgpr 136
		.amdhsa_next_free_sgpr 40
		.amdhsa_accum_offset 136
		.amdhsa_reserve_vcc 1
		.amdhsa_float_round_mode_32 0
		.amdhsa_float_round_mode_16_64 0
		.amdhsa_float_denorm_mode_32 3
		.amdhsa_float_denorm_mode_16_64 3
		.amdhsa_dx10_clamp 1
		.amdhsa_ieee_mode 1
		.amdhsa_fp16_overflow 0
		.amdhsa_tg_split 0
		.amdhsa_exception_fp_ieee_invalid_op 0
		.amdhsa_exception_fp_denorm_src 0
		.amdhsa_exception_fp_ieee_div_zero 0
		.amdhsa_exception_fp_ieee_overflow 0
		.amdhsa_exception_fp_ieee_underflow 0
		.amdhsa_exception_fp_ieee_inexact 0
		.amdhsa_exception_int_div_zero 0
	.end_amdhsa_kernel
	.text
.Lfunc_end0:
	.size	fft_rtc_back_len1716_factors_13_2_6_11_wgs_156_tpt_156_sp_op_CI_CI_unitstride_sbrr_R2C_dirReg, .Lfunc_end0-fft_rtc_back_len1716_factors_13_2_6_11_wgs_156_tpt_156_sp_op_CI_CI_unitstride_sbrr_R2C_dirReg
                                        ; -- End function
	.section	.AMDGPU.csdata,"",@progbits
; Kernel info:
; codeLenInByte = 10256
; NumSgprs: 46
; NumVgprs: 136
; NumAgprs: 0
; TotalNumVgprs: 136
; ScratchSize: 0
; MemoryBound: 0
; FloatMode: 240
; IeeeMode: 1
; LDSByteSize: 0 bytes/workgroup (compile time only)
; SGPRBlocks: 5
; VGPRBlocks: 16
; NumSGPRsForWavesPerEU: 46
; NumVGPRsForWavesPerEU: 136
; AccumOffset: 136
; Occupancy: 3
; WaveLimiterHint : 1
; COMPUTE_PGM_RSRC2:SCRATCH_EN: 0
; COMPUTE_PGM_RSRC2:USER_SGPR: 2
; COMPUTE_PGM_RSRC2:TRAP_HANDLER: 0
; COMPUTE_PGM_RSRC2:TGID_X_EN: 1
; COMPUTE_PGM_RSRC2:TGID_Y_EN: 0
; COMPUTE_PGM_RSRC2:TGID_Z_EN: 0
; COMPUTE_PGM_RSRC2:TIDIG_COMP_CNT: 0
; COMPUTE_PGM_RSRC3_GFX90A:ACCUM_OFFSET: 33
; COMPUTE_PGM_RSRC3_GFX90A:TG_SPLIT: 0
	.text
	.p2alignl 6, 3212836864
	.fill 256, 4, 3212836864
	.type	__hip_cuid_fbd7d96c187dbc02,@object ; @__hip_cuid_fbd7d96c187dbc02
	.section	.bss,"aw",@nobits
	.globl	__hip_cuid_fbd7d96c187dbc02
__hip_cuid_fbd7d96c187dbc02:
	.byte	0                               ; 0x0
	.size	__hip_cuid_fbd7d96c187dbc02, 1

	.ident	"AMD clang version 19.0.0git (https://github.com/RadeonOpenCompute/llvm-project roc-6.4.0 25133 c7fe45cf4b819c5991fe208aaa96edf142730f1d)"
	.section	".note.GNU-stack","",@progbits
	.addrsig
	.addrsig_sym __hip_cuid_fbd7d96c187dbc02
	.amdgpu_metadata
---
amdhsa.kernels:
  - .agpr_count:     0
    .args:
      - .actual_access:  read_only
        .address_space:  global
        .offset:         0
        .size:           8
        .value_kind:     global_buffer
      - .offset:         8
        .size:           8
        .value_kind:     by_value
      - .actual_access:  read_only
        .address_space:  global
        .offset:         16
        .size:           8
        .value_kind:     global_buffer
      - .actual_access:  read_only
        .address_space:  global
        .offset:         24
        .size:           8
        .value_kind:     global_buffer
      - .actual_access:  read_only
        .address_space:  global
        .offset:         32
        .size:           8
        .value_kind:     global_buffer
      - .offset:         40
        .size:           8
        .value_kind:     by_value
      - .actual_access:  read_only
        .address_space:  global
        .offset:         48
        .size:           8
        .value_kind:     global_buffer
      - .actual_access:  read_only
        .address_space:  global
        .offset:         56
        .size:           8
        .value_kind:     global_buffer
      - .offset:         64
        .size:           4
        .value_kind:     by_value
      - .actual_access:  read_only
        .address_space:  global
        .offset:         72
        .size:           8
        .value_kind:     global_buffer
      - .actual_access:  read_only
        .address_space:  global
        .offset:         80
        .size:           8
        .value_kind:     global_buffer
      - .actual_access:  read_only
        .address_space:  global
        .offset:         88
        .size:           8
        .value_kind:     global_buffer
      - .actual_access:  write_only
        .address_space:  global
        .offset:         96
        .size:           8
        .value_kind:     global_buffer
    .group_segment_fixed_size: 0
    .kernarg_segment_align: 8
    .kernarg_segment_size: 104
    .language:       OpenCL C
    .language_version:
      - 2
      - 0
    .max_flat_workgroup_size: 156
    .name:           fft_rtc_back_len1716_factors_13_2_6_11_wgs_156_tpt_156_sp_op_CI_CI_unitstride_sbrr_R2C_dirReg
    .private_segment_fixed_size: 0
    .sgpr_count:     46
    .sgpr_spill_count: 0
    .symbol:         fft_rtc_back_len1716_factors_13_2_6_11_wgs_156_tpt_156_sp_op_CI_CI_unitstride_sbrr_R2C_dirReg.kd
    .uniform_work_group_size: 1
    .uses_dynamic_stack: false
    .vgpr_count:     136
    .vgpr_spill_count: 0
    .wavefront_size: 64
amdhsa.target:   amdgcn-amd-amdhsa--gfx950
amdhsa.version:
  - 1
  - 2
...

	.end_amdgpu_metadata
